;; amdgpu-corpus repo=ROCm/rocm-examples kind=compiled arch=gfx906 opt=O3
	.amdgcn_target "amdgcn-amd-amdhsa--gfx906"
	.amdhsa_code_object_version 6
	.section	.text.unlikely.,"ax",@progbits
	.p2align	2                               ; -- Begin function __ockl_dm_alloc
	.type	__ockl_dm_alloc,@function
__ockl_dm_alloc:                        ; @__ockl_dm_alloc
; %bb.0:
	s_waitcnt vmcnt(0) expcnt(0) lgkmcnt(0)
	s_or_saveexec_b64 s[4:5], -1
	buffer_store_dword v63, off, s[0:3], s32 offset:96 ; 4-byte Folded Spill
	s_mov_b64 exec, s[4:5]
	buffer_store_dword v40, off, s[0:3], s32 offset:56 ; 4-byte Folded Spill
	buffer_store_dword v41, off, s[0:3], s32 offset:52 ; 4-byte Folded Spill
	;; [unrolled: 1-line block ×14, first 2 shown]
	buffer_store_dword v62, off, s[0:3], s32 ; 4-byte Folded Spill
	v_writelane_b32 v63, s34, 0
	v_writelane_b32 v63, s35, 1
	;; [unrolled: 1-line block ×27, first 2 shown]
	v_mov_b32_e32 v3, v1
	v_mov_b32_e32 v2, v0
	v_mov_b32_e32 v46, 0
	v_cmp_ne_u64_e32 vcc, 0, v[2:3]
	v_mov_b32_e32 v47, 0
	s_and_saveexec_b64 s[28:29], vcc
	s_cbranch_execz .LBB0_661
; %bb.1:
	s_mov_b64 s[4:5], 0xc01
	v_cmp_gt_u64_e32 vcc, s[4:5], v[2:3]
	v_mbcnt_lo_u32_b32 v4, -1, 0
                                        ; implicit-def: $vgpr46_vgpr47
	s_and_saveexec_b64 s[4:5], vcc
	s_xor_b64 s[40:41], exec, s[4:5]
	s_cbranch_execz .LBB0_628
; %bb.2:
	v_max_u32_e32 v0, 16, v2
	v_ffbh_u32_e32 v1, v0
	v_xor_b32_e32 v2, 31, v1
	v_lshlrev_b32_e64 v2, v2, 1
	s_load_dwordx2 s[42:43], s[8:9], 0x60
	v_cmp_gt_u32_e32 vcc, v0, v2
	v_lshrrev_b32_e32 v5, 1, v2
	v_cndmask_b32_e64 v3, 0, 1, vcc
	v_or_b32_e32 v2, v5, v2
	v_lshlrev_b32_e32 v1, 1, v1
	v_sub_u32_e32 v1, v3, v1
	v_cmp_gt_u32_e32 vcc, v0, v2
	v_mov_b32_e32 v8, 0
	v_addc_co_u32_e32 v32, vcc, 54, v1, vcc
	v_mov_b32_e32 v33, v8
	s_waitcnt lgkmcnt(0)
	s_add_u32 s44, s42, 0x2800
	v_lshlrev_b64 v[0:1], 7, v[32:33]
	s_addc_u32 s45, s43, 0
	s_add_u32 s38, s42, 0x1000
	v_mov_b32_e32 v2, s43
	v_add_co_u32_e32 v28, vcc, s42, v0
	s_addc_u32 s39, s43, 0
	v_addc_co_u32_e32 v29, vcc, v2, v1, vcc
	s_add_u32 s48, s42, 0x2000
	v_mov_b32_e32 v2, s39
	v_add_co_u32_e32 v30, vcc, s38, v0
	s_addc_u32 s49, s43, 0
	v_addc_co_u32_e32 v31, vcc, v2, v1, vcc
	;; [unrolled: 5-line block ×3, first 2 shown]
	v_mov_b32_e32 v2, s51
	v_add_co_u32_e32 v38, vcc, s50, v0
	v_addc_co_u32_e32 v39, vcc, v2, v1, vcc
	v_lshlrev_b64 v[0:1], v32, 1
	s_add_u32 s46, s42, 0x1a800
	v_and_b32_e32 v7, 0xbf, v0
	v_mov_b32_e32 v0, s44
	s_addc_u32 s47, s43, 0
	s_movk_i32 s52, 0x1800
	v_mov_b32_e32 v1, s45
	s_add_u32 s56, s42, 0x1a808
	v_mad_u64_u32 v[36:37], s[4:5], v32, s52, v[0:1]
	s_addc_u32 s57, s43, 0
	s_getpc_b64 s[10:11]
	s_add_u32 s10, s10, kinfo@rel32@lo+4
	s_addc_u32 s11, s11, kinfo@rel32@hi+12
	v_cmp_ne_u64_e64 s[4:5], 0, v[7:8]
	v_mov_b32_e32 v12, 1
	v_mov_b32_e32 v46, 0
	v_cmp_ne_u32_e64 s[6:7], 2, v32
	v_mov_b32_e32 v34, v8
	v_mov_b32_e32 v35, v8
	s_mov_b32 s24, 0
	s_mov_b32 s53, 0xff00ff01
	s_movk_i32 s54, 0xff
	s_mov_b32 s55, 0x10100
	s_mov_b64 s[58:59], 0x752f
	s_movk_i32 s64, 0x300
	s_movk_i32 s65, 0x2ff
	s_mov_b64 s[60:61], 0x7530
	s_mov_b64 s[62:63], 0x4e1f
	s_mov_b32 s66, 0x200000
	s_mov_b64 s[72:73], 0x4e20
	v_mbcnt_hi_u32_b32 v60, -1, v4
	v_mov_b32_e32 v11, 3
	v_mov_b32_e32 v0, v12
	v_mad_u64_u32 v[44:45], s[10:11], v32, 28, s[10:11]
	v_mov_b32_e32 v47, 0
	v_mov_b32_e32 v48, 0x100
	;; [unrolled: 1-line block ×4, first 2 shown]
	buffer_store_dword v32, off, s[0:3], s32 offset:60 ; 4-byte Folded Spill
	s_nop 0
	buffer_store_dword v33, off, s[0:3], s32 offset:64 ; 4-byte Folded Spill
	buffer_store_dword v34, off, s[0:3], s32 offset:68 ; 4-byte Folded Spill
	;; [unrolled: 1-line block ×4, first 2 shown]
	s_nop 0
	buffer_store_dword v45, off, s[0:3], s32 offset:92 ; 4-byte Folded Spill
.LBB0_3:                                ; =>This Loop Header: Depth=1
                                        ;     Child Loop BB0_6 Depth 2
                                        ;       Child Loop BB0_11 Depth 3
                                        ;         Child Loop BB0_14 Depth 4
                                        ;         Child Loop BB0_37 Depth 4
                                        ;           Child Loop BB0_41 Depth 5
                                        ;           Child Loop BB0_62 Depth 5
                                        ;             Child Loop BB0_80 Depth 6
                                        ;             Child Loop BB0_88 Depth 6
	;; [unrolled: 1-line block ×29, first 2 shown]
                                        ;           Child Loop BB0_297 Depth 5
                                        ;           Child Loop BB0_300 Depth 5
                                        ;           Child Loop BB0_302 Depth 5
                                        ;           Child Loop BB0_304 Depth 5
                                        ;           Child Loop BB0_306 Depth 5
                                        ;           Child Loop BB0_308 Depth 5
                                        ;           Child Loop BB0_310 Depth 5
                                        ;       Child Loop BB0_322 Depth 3
                                        ;         Child Loop BB0_326 Depth 4
                                        ;         Child Loop BB0_347 Depth 4
                                        ;           Child Loop BB0_365 Depth 5
                                        ;           Child Loop BB0_373 Depth 5
	;; [unrolled: 1-line block ×29, first 2 shown]
                                        ;         Child Loop BB0_582 Depth 4
                                        ;         Child Loop BB0_585 Depth 4
	;; [unrolled: 1-line block ×7, first 2 shown]
                                        ;       Child Loop BB0_607 Depth 3
	v_cmp_ne_u32_e32 vcc, 0, v0
	v_mov_b32_e32 v0, v8
	s_and_saveexec_b64 s[74:75], vcc
	s_cbranch_execz .LBB0_626
; %bb.4:                                ;   in Loop: Header=BB0_3 Depth=1
	v_readfirstlane_b32 s10, v32
	v_cmp_eq_u32_e32 vcc, s10, v32
	v_mov_b32_e32 v0, 1
	s_and_saveexec_b64 s[76:77], vcc
	s_cbranch_execz .LBB0_625
; %bb.5:                                ;   in Loop: Header=BB0_3 Depth=1
	v_mov_b32_e32 v0, 1
	v_mov_b32_e32 v2, 1
	buffer_store_dword v0, off, s[0:3], s32 offset:84 ; 4-byte Folded Spill
.LBB0_6:                                ;   Parent Loop BB0_3 Depth=1
                                        ; =>  This Loop Header: Depth=2
                                        ;       Child Loop BB0_11 Depth 3
                                        ;         Child Loop BB0_14 Depth 4
                                        ;         Child Loop BB0_37 Depth 4
                                        ;           Child Loop BB0_41 Depth 5
                                        ;           Child Loop BB0_62 Depth 5
                                        ;             Child Loop BB0_80 Depth 6
                                        ;             Child Loop BB0_88 Depth 6
	;; [unrolled: 1-line block ×29, first 2 shown]
                                        ;           Child Loop BB0_297 Depth 5
                                        ;           Child Loop BB0_300 Depth 5
	;; [unrolled: 1-line block ×7, first 2 shown]
                                        ;       Child Loop BB0_322 Depth 3
                                        ;         Child Loop BB0_326 Depth 4
                                        ;         Child Loop BB0_347 Depth 4
                                        ;           Child Loop BB0_365 Depth 5
                                        ;           Child Loop BB0_373 Depth 5
	;; [unrolled: 1-line block ×29, first 2 shown]
                                        ;         Child Loop BB0_582 Depth 4
                                        ;         Child Loop BB0_585 Depth 4
	;; [unrolled: 1-line block ×7, first 2 shown]
                                        ;       Child Loop BB0_607 Depth 3
	v_cmp_ne_u32_e32 vcc, 0, v2
	s_mov_b64 s[10:11], 0
	v_mov_b32_e32 v2, 0
	s_and_saveexec_b64 s[78:79], vcc
	s_cbranch_execz .LBB0_623
; %bb.7:                                ;   in Loop: Header=BB0_6 Depth=2
	v_mbcnt_lo_u32_b32 v3, exec_lo, 0
	v_mbcnt_hi_u32_b32 v3, exec_hi, v3
	v_mov_b32_e32 v2, 0
	v_cmp_eq_u32_e32 vcc, 0, v3
	s_and_saveexec_b64 s[10:11], vcc
	s_cbranch_execz .LBB0_9
; %bb.8:                                ;   in Loop: Header=BB0_6 Depth=2
	global_load_dword v2, v[28:29], off offset:2048 glc
.LBB0_9:                                ;   in Loop: Header=BB0_6 Depth=2
	s_or_b64 exec, exec, s[10:11]
	s_waitcnt vmcnt(0)
	v_readfirstlane_b32 s67, v2
	s_cmp_gt_u32 s67, 0x100ff
	s_mov_b64 s[10:11], -1
                                        ; implicit-def: $vgpr50_vgpr51
	s_cbranch_scc0 .LBB0_320
; %bb.10:                               ;   in Loop: Header=BB0_6 Depth=2
	v_mbcnt_lo_u32_b32 v2, exec_lo, 0
	v_mov_b32_e32 v0, v53
	v_mbcnt_hi_u32_b32 v62, exec_hi, v2
	v_mov_b32_e32 v1, v54
	s_bcnt1_i32_b64 s68, exec
	v_cmp_eq_u32_e64 s[10:11], 0, v62
	s_mov_b64 s[88:89], 0
	v_mov_b32_e32 v7, v32
	buffer_store_dword v46, off, s[0:3], s32 offset:76 ; 4-byte Folded Spill
	s_nop 0
	buffer_store_dword v47, off, s[0:3], s32 offset:80 ; 4-byte Folded Spill
                                        ; implicit-def: $vgpr50_vgpr51
.LBB0_11:                               ;   Parent Loop BB0_3 Depth=1
                                        ;     Parent Loop BB0_6 Depth=2
                                        ; =>    This Loop Header: Depth=3
                                        ;         Child Loop BB0_14 Depth 4
                                        ;         Child Loop BB0_37 Depth 4
                                        ;           Child Loop BB0_41 Depth 5
                                        ;           Child Loop BB0_62 Depth 5
                                        ;             Child Loop BB0_80 Depth 6
                                        ;             Child Loop BB0_88 Depth 6
	;; [unrolled: 1-line block ×29, first 2 shown]
                                        ;           Child Loop BB0_297 Depth 5
                                        ;           Child Loop BB0_300 Depth 5
	;; [unrolled: 1-line block ×7, first 2 shown]
	v_lshlrev_b64 v[13:14], 7, v[7:8]
	v_mov_b32_e32 v2, 0
	s_and_saveexec_b64 s[12:13], s[10:11]
	s_cbranch_execz .LBB0_13
; %bb.12:                               ;   in Loop: Header=BB0_11 Depth=3
	v_mov_b32_e32 v3, s43
	v_add_co_u32_e32 v2, vcc, s42, v13
	v_addc_co_u32_e32 v3, vcc, v3, v14, vcc
	global_load_dword v2, v[2:3], off glc
.LBB0_13:                               ;   in Loop: Header=BB0_11 Depth=3
	s_or_b64 exec, exec, s[12:13]
	s_getpc_b64 s[12:13]
	s_add_u32 s12, s12, kinfo@rel32@lo+8
	s_addc_u32 s13, s13, kinfo@rel32@hi+16
	v_mad_u64_u32 v[3:4], s[12:13], v7, 28, s[12:13]
	s_waitcnt vmcnt(0)
	v_readfirstlane_b32 s12, v2
	v_add_u32_e32 v2, s12, v62
	global_load_dword v6, v[3:4], off
	v_mul_hi_u32 v3, v2, s53
	s_mov_b32 s16, 0x10100
	v_add_co_u32_e32 v13, vcc, s42, v13
	v_mul_u32_u24_sdwa v3, v3, s16 dst_sel:DWORD dst_unused:UNUSED_PAD src0_sel:WORD_1 src1_sel:DWORD
	v_sub_u32_e32 v19, v2, v3
	v_mov_b32_e32 v2, s44
	v_mov_b32_e32 v3, s45
	v_mad_u64_u32 v[9:10], s[12:13], v7, s52, v[2:3]
	v_mov_b32_e32 v2, s43
	v_addc_co_u32_e32 v14, vcc, v2, v14, vcc
.LBB0_14:                               ;   Parent Loop BB0_3 Depth=1
                                        ;     Parent Loop BB0_6 Depth=2
                                        ;       Parent Loop BB0_11 Depth=3
                                        ; =>      This Inner Loop Header: Depth=4
	v_mov_b32_e32 v17, v10
	v_cmp_lt_u32_e32 vcc, s54, v19
	v_mov_b32_e32 v2, v19
	v_mov_b32_e32 v16, v9
	s_and_saveexec_b64 s[12:13], vcc
	s_cbranch_execz .LBB0_16
; %bb.15:                               ;   in Loop: Header=BB0_14 Depth=4
	v_add_u32_e32 v2, 0xffffff00, v19
	v_lshrrev_b32_e32 v2, 8, v2
	v_mad_u64_u32 v[2:3], s[14:15], v2, 24, v[9:10]
	global_load_dwordx2 v[16:17], v[2:3], off glc
	v_and_b32_e32 v2, 0xff, v19
.LBB0_16:                               ;   in Loop: Header=BB0_14 Depth=4
	s_or_b64 exec, exec, s[12:13]
	s_waitcnt vmcnt(0)
	v_mad_u64_u32 v[2:3], s[12:13], v2, 24, v[16:17]
	global_load_dword v2, v[2:3], off offset:16 glc
	s_waitcnt vmcnt(0)
	v_cmp_lt_u32_e32 vcc, v2, v6
	s_cbranch_vccz .LBB0_18
; %bb.17:                               ;   in Loop: Header=BB0_14 Depth=4
	s_ff1_i32_b64 s12, vcc
	s_lshl_b32 s12, s12, 2
	v_mov_b32_e32 v2, s12
	ds_bpermute_b32 v2, v2, v19
	s_branch .LBB0_19
.LBB0_18:                               ;   in Loop: Header=BB0_14 Depth=4
	v_mov_b32_e32 v2, -1
.LBB0_19:                               ;   in Loop: Header=BB0_14 Depth=4
	s_waitcnt lgkmcnt(0)
	v_readfirstlane_b32 s17, v2
	s_cmp_eq_u32 s17, -1
	s_cselect_b64 s[12:13], -1, 0
	s_mov_b64 s[14:15], -1
	s_and_b64 vcc, exec, s[12:13]
                                        ; implicit-def: $vgpr16_vgpr17
	s_cbranch_vccnz .LBB0_23
; %bb.20:                               ;   in Loop: Header=BB0_14 Depth=4
	v_mov_b32_e32 v17, v10
	s_cmpk_lt_u32 s17, 0x100
	v_mov_b32_e32 v16, v9
	s_cbranch_scc1 .LBB0_22
; %bb.21:                               ;   in Loop: Header=BB0_14 Depth=4
	s_add_i32 s14, s17, 0xffffff00
	s_lshr_b32 s14, s14, 8
	v_mad_u64_u32 v[2:3], s[14:15], s14, 24, v[9:10]
	s_and_b32 s17, s17, 0xff
	global_load_dwordx2 v[16:17], v[2:3], off glc
.LBB0_22:                               ;   in Loop: Header=BB0_14 Depth=4
	s_waitcnt vmcnt(0)
	v_mad_u64_u32 v[16:17], s[14:15], s17, 24, v[16:17]
	s_mov_b64 s[14:15], 0
.LBB0_23:                               ;   in Loop: Header=BB0_14 Depth=4
	s_and_b64 vcc, exec, s[14:15]
	s_cbranch_vccz .LBB0_27
; %bb.24:                               ;   in Loop: Header=BB0_14 Depth=4
	v_add_u32_e32 v2, s68, v19
	v_mul_hi_u32 v3, v2, s53
	v_mul_u32_u24_sdwa v3, v3, s55 dst_sel:DWORD dst_unused:UNUSED_PAD src0_sel:WORD_1 src1_sel:DWORD
	v_sub_u32_e32 v19, v2, v3
	s_and_saveexec_b64 s[14:15], s[10:11]
	s_cbranch_execz .LBB0_26
; %bb.25:                               ;   in Loop: Header=BB0_14 Depth=4
	global_store_dword v[13:14], v19, off
.LBB0_26:                               ;   in Loop: Header=BB0_14 Depth=4
	s_or_b64 exec, exec, s[14:15]
	s_sub_i32 s16, s16, s68
	s_branch .LBB0_28
.LBB0_27:                               ;   in Loop: Header=BB0_14 Depth=4
	v_mov_b32_e32 v51, v17
	v_mov_b32_e32 v50, v16
.LBB0_28:                               ;   in Loop: Header=BB0_14 Depth=4
	s_mov_b64 s[14:15], -1
	s_andn2_b64 vcc, exec, s[12:13]
	s_mov_b64 s[12:13], -1
	s_cbranch_vccnz .LBB0_30
; %bb.29:                               ;   in Loop: Header=BB0_14 Depth=4
	s_cmp_lt_i32 s16, 1
	s_mov_b64 s[14:15], 0
	s_cselect_b64 s[12:13], -1, 0
.LBB0_30:                               ;   in Loop: Header=BB0_14 Depth=4
	s_andn2_b64 vcc, exec, s[12:13]
	s_cbranch_vccnz .LBB0_14
; %bb.31:                               ;   in Loop: Header=BB0_11 Depth=3
	s_andn2_b64 vcc, exec, s[14:15]
	s_mov_b64 s[12:13], 0
	s_cbranch_vccz .LBB0_318
; %bb.32:                               ;   in Loop: Header=BB0_11 Depth=3
	v_cmp_eq_u32_e32 vcc, v7, v32
	v_cmp_gt_u32_e64 s[12:13], 14, v7
	v_mov_b32_e32 v9, 0
	s_and_b64 s[14:15], vcc, s[12:13]
	v_mov_b32_e32 v10, 0
	s_mov_b64 s[12:13], 0
	s_and_saveexec_b64 s[90:91], s[14:15]
	s_cbranch_execz .LBB0_317
; %bb.33:                               ;   in Loop: Header=BB0_11 Depth=3
	v_and_b32_e32 v7, -2, v7
	v_mov_b32_e32 v2, 0
	s_and_saveexec_b64 s[12:13], s[10:11]
	s_cbranch_execz .LBB0_35
; %bb.34:                               ;   in Loop: Header=BB0_11 Depth=3
	v_lshlrev_b64 v[2:3], 7, v[7:8]
	v_mov_b32_e32 v4, s43
	v_add_co_u32_e32 v2, vcc, s42, v2
	v_addc_co_u32_e32 v3, vcc, v4, v3, vcc
	global_load_dword v2, v[2:3], off offset:2304 glc
.LBB0_35:                               ;   in Loop: Header=BB0_11 Depth=3
	s_or_b64 exec, exec, s[12:13]
	s_waitcnt vmcnt(0)
	v_readfirstlane_b32 s70, v2
	v_add_u32_e32 v20, 2, v7
	s_cmp_gt_u32 s70, 0x100ff
	s_mov_b64 s[12:13], -1
	s_cbranch_scc1 .LBB0_316
; %bb.36:                               ;   in Loop: Header=BB0_11 Depth=3
	v_mbcnt_lo_u32_b32 v2, exec_lo, 0
	v_mbcnt_hi_u32_b32 v61, exec_hi, v2
	v_lshlrev_b64 v[2:3], 7, v[7:8]
	v_mov_b32_e32 v4, s43
	v_add_co_u32_e32 v52, vcc, s42, v2
	s_bcnt1_i32_b64 s69, exec
	v_addc_co_u32_e32 v53, vcc, v4, v3, vcc
	v_mov_b32_e32 v2, s44
	v_mov_b32_e32 v21, v8
	s_getpc_b64 s[14:15]
	s_add_u32 s14, s14, kinfo@rel32@lo+4
	s_addc_u32 s15, s15, kinfo@rel32@hi+12
	v_mov_b32_e32 v3, s45
	v_mad_u64_u32 v[54:55], s[14:15], v7, 28, s[14:15]
	v_mad_u64_u32 v[40:41], s[14:15], v20, s52, v[2:3]
	v_lshlrev_b64 v[2:3], 7, v[20:21]
	v_mov_b32_e32 v4, s39
	v_add_co_u32_e32 v42, vcc, s38, v2
	v_addc_co_u32_e32 v43, vcc, v4, v3, vcc
	v_mov_b32_e32 v4, s49
	v_add_co_u32_e32 v44, vcc, s48, v2
	v_addc_co_u32_e32 v45, vcc, v4, v3, vcc
	v_lshlrev_b64 v[4:5], v20, 1
	v_mov_b32_e32 v6, s51
	v_add_co_u32_e32 v46, vcc, s50, v2
	v_addc_co_u32_e32 v47, vcc, v6, v3, vcc
	v_and_b32_e32 v2, 20, v4
	v_mov_b32_e32 v3, v8
	v_cmp_ne_u64_e64 s[14:15], 0, v[2:3]
	v_cmp_eq_u32_e64 s[12:13], 0, v61
	v_cmp_ne_u32_e64 s[16:17], 0, v7
	v_mov_b32_e32 v22, v8
	v_mov_b32_e32 v23, v8
                                        ; implicit-def: $vgpr50_vgpr51
.LBB0_37:                               ;   Parent Loop BB0_3 Depth=1
                                        ;     Parent Loop BB0_6 Depth=2
                                        ;       Parent Loop BB0_11 Depth=3
                                        ; =>      This Loop Header: Depth=4
                                        ;           Child Loop BB0_41 Depth 5
                                        ;           Child Loop BB0_62 Depth 5
                                        ;             Child Loop BB0_80 Depth 6
                                        ;             Child Loop BB0_88 Depth 6
	;; [unrolled: 1-line block ×29, first 2 shown]
                                        ;           Child Loop BB0_297 Depth 5
                                        ;           Child Loop BB0_300 Depth 5
	;; [unrolled: 1-line block ×7, first 2 shown]
	s_cmp_eq_u32 s70, 0
	s_mov_b64 s[18:19], -1
	s_cbranch_scc1 .LBB0_59
; %bb.38:                               ;   in Loop: Header=BB0_37 Depth=4
	v_mov_b32_e32 v2, 0
	s_and_saveexec_b64 s[20:21], s[12:13]
	s_cbranch_execz .LBB0_40
; %bb.39:                               ;   in Loop: Header=BB0_37 Depth=4
	global_load_dword v2, v[52:53], off offset:256 glc
.LBB0_40:                               ;   in Loop: Header=BB0_37 Depth=4
	s_or_b64 exec, exec, s[20:21]
	global_load_dword v9, v[54:55], off offset:64
	v_cvt_f32_u32_e32 v3, s70
	s_sub_i32 s20, 0, s70
	s_mov_b32 s25, s70
	v_rcp_iflag_f32_e32 v3, v3
	v_mul_f32_e32 v3, 0x4f7ffffe, v3
	v_cvt_u32_f32_e32 v3, v3
	v_mul_lo_u32 v4, s20, v3
	s_waitcnt vmcnt(1)
	v_readfirstlane_b32 s20, v2
	v_add_u32_e32 v2, s20, v61
	v_mul_hi_u32 v4, v3, v4
	v_add_u32_e32 v10, v3, v4
	v_mul_hi_u32 v3, v2, v10
	v_mul_lo_u32 v3, v3, s70
	v_sub_u32_e32 v2, v2, v3
	v_subrev_u32_e32 v3, s70, v2
	v_cmp_le_u32_e32 vcc, s70, v2
	v_cndmask_b32_e32 v2, v2, v3, vcc
	v_subrev_u32_e32 v3, s70, v2
	v_cmp_le_u32_e32 vcc, s70, v2
	v_cndmask_b32_e32 v13, v2, v3, vcc
.LBB0_41:                               ;   Parent Loop BB0_3 Depth=1
                                        ;     Parent Loop BB0_6 Depth=2
                                        ;       Parent Loop BB0_11 Depth=3
                                        ;         Parent Loop BB0_37 Depth=4
                                        ; =>        This Inner Loop Header: Depth=5
	v_mov_b32_e32 v6, v40
	v_cmp_lt_u32_e32 vcc, s54, v13
	v_mov_b32_e32 v2, v13
	v_mov_b32_e32 v7, v41
	s_and_saveexec_b64 s[20:21], vcc
	s_cbranch_execz .LBB0_43
; %bb.42:                               ;   in Loop: Header=BB0_41 Depth=5
	v_add_u32_e32 v2, 0xffffff00, v13
	v_lshrrev_b32_e32 v2, 8, v2
	v_mad_u64_u32 v[2:3], s[22:23], v2, 24, v[40:41]
	global_load_dwordx2 v[6:7], v[2:3], off glc
	v_and_b32_e32 v2, 0xff, v13
.LBB0_43:                               ;   in Loop: Header=BB0_41 Depth=5
	s_or_b64 exec, exec, s[20:21]
	s_waitcnt vmcnt(0)
	v_mad_u64_u32 v[2:3], s[20:21], v2, 24, v[6:7]
	global_load_dword v2, v[2:3], off offset:16 glc
	s_waitcnt vmcnt(0)
	v_cmp_lt_u32_e32 vcc, v2, v9
	s_cbranch_vccz .LBB0_45
; %bb.44:                               ;   in Loop: Header=BB0_41 Depth=5
	s_ff1_i32_b64 s20, vcc
	s_lshl_b32 s20, s20, 2
	v_mov_b32_e32 v2, s20
	ds_bpermute_b32 v2, v2, v13
	s_branch .LBB0_46
.LBB0_45:                               ;   in Loop: Header=BB0_41 Depth=5
	v_mov_b32_e32 v2, -1
.LBB0_46:                               ;   in Loop: Header=BB0_41 Depth=5
	s_waitcnt lgkmcnt(0)
	v_readfirstlane_b32 s26, v2
	s_cmp_eq_u32 s26, -1
	s_cselect_b64 s[20:21], -1, 0
	s_mov_b64 s[22:23], -1
	s_and_b64 vcc, exec, s[20:21]
                                        ; implicit-def: $vgpr6_vgpr7
	s_cbranch_vccnz .LBB0_50
; %bb.47:                               ;   in Loop: Header=BB0_41 Depth=5
	v_mov_b32_e32 v6, v40
	s_cmpk_lt_u32 s26, 0x100
	v_mov_b32_e32 v7, v41
	s_cbranch_scc1 .LBB0_49
; %bb.48:                               ;   in Loop: Header=BB0_41 Depth=5
	s_add_i32 s22, s26, 0xffffff00
	s_lshr_b32 s22, s22, 8
	v_mad_u64_u32 v[2:3], s[22:23], s22, 24, v[40:41]
	s_and_b32 s26, s26, 0xff
	global_load_dwordx2 v[6:7], v[2:3], off glc
.LBB0_49:                               ;   in Loop: Header=BB0_41 Depth=5
	s_waitcnt vmcnt(0)
	v_mad_u64_u32 v[6:7], s[22:23], s26, 24, v[6:7]
	s_mov_b64 s[22:23], 0
.LBB0_50:                               ;   in Loop: Header=BB0_41 Depth=5
	s_and_b64 vcc, exec, s[22:23]
	s_cbranch_vccz .LBB0_54
; %bb.51:                               ;   in Loop: Header=BB0_41 Depth=5
	v_add_u32_e32 v2, s69, v13
	v_mul_hi_u32 v3, v2, v10
	v_mul_lo_u32 v3, v3, s70
	v_sub_u32_e32 v2, v2, v3
	v_subrev_u32_e32 v3, s70, v2
	v_cmp_le_u32_e32 vcc, s70, v2
	v_cndmask_b32_e32 v2, v2, v3, vcc
	v_subrev_u32_e32 v3, s70, v2
	v_cmp_le_u32_e32 vcc, s70, v2
	v_cndmask_b32_e32 v13, v2, v3, vcc
	s_and_saveexec_b64 s[22:23], s[12:13]
	s_cbranch_execz .LBB0_53
; %bb.52:                               ;   in Loop: Header=BB0_41 Depth=5
	global_store_dword v[52:53], v13, off offset:256
.LBB0_53:                               ;   in Loop: Header=BB0_41 Depth=5
	s_or_b64 exec, exec, s[22:23]
	s_sub_i32 s25, s25, s69
	s_branch .LBB0_55
.LBB0_54:                               ;   in Loop: Header=BB0_41 Depth=5
	v_mov_b32_e32 v51, v7
	v_mov_b32_e32 v50, v6
.LBB0_55:                               ;   in Loop: Header=BB0_41 Depth=5
	s_mov_b64 s[22:23], -1
	s_andn2_b64 vcc, exec, s[20:21]
	s_mov_b64 s[20:21], -1
	s_cbranch_vccnz .LBB0_57
; %bb.56:                               ;   in Loop: Header=BB0_41 Depth=5
	s_cmp_lt_i32 s25, 1
	s_mov_b64 s[22:23], 0
	s_cselect_b64 s[20:21], -1, 0
.LBB0_57:                               ;   in Loop: Header=BB0_41 Depth=5
	s_andn2_b64 vcc, exec, s[20:21]
	s_cbranch_vccnz .LBB0_41
; %bb.58:                               ;   in Loop: Header=BB0_37 Depth=4
	s_xor_b64 s[20:21], s[22:23], -1
	s_branch .LBB0_60
.LBB0_59:                               ;   in Loop: Header=BB0_37 Depth=4
	s_mov_b64 s[20:21], -1
.LBB0_60:                               ;   in Loop: Header=BB0_37 Depth=4
	s_and_b64 vcc, exec, s[20:21]
	s_cbranch_vccz .LBB0_293
; %bb.61:                               ;   in Loop: Header=BB0_37 Depth=4
	v_mbcnt_lo_u32_b32 v2, exec_lo, 0
	v_mbcnt_hi_u32_b32 v2, exec_hi, v2
	v_cmp_eq_u32_e64 s[18:19], 0, v2
                                        ; implicit-def: $vgpr56_vgpr57
.LBB0_62:                               ;   Parent Loop BB0_3 Depth=1
                                        ;     Parent Loop BB0_6 Depth=2
                                        ;       Parent Loop BB0_11 Depth=3
                                        ;         Parent Loop BB0_37 Depth=4
                                        ; =>        This Loop Header: Depth=5
                                        ;             Child Loop BB0_80 Depth 6
                                        ;             Child Loop BB0_88 Depth 6
	;; [unrolled: 1-line block ×29, first 2 shown]
	v_mov_b32_e32 v2, 0
	s_and_saveexec_b64 s[20:21], s[18:19]
	s_cbranch_execz .LBB0_64
; %bb.63:                               ;   in Loop: Header=BB0_62 Depth=5
	global_load_dword v2, v[52:53], off offset:2304 glc
.LBB0_64:                               ;   in Loop: Header=BB0_62 Depth=5
	s_or_b64 exec, exec, s[20:21]
	s_waitcnt vmcnt(0)
	v_readfirstlane_b32 s71, v2
	s_cmp_eq_u32 s71, 0x10100
	s_cbranch_scc1 .LBB0_174
; %bb.65:                               ;   in Loop: Header=BB0_62 Depth=5
	v_mov_b32_e32 v2, 0
	s_and_saveexec_b64 s[20:21], s[18:19]
	s_cbranch_execz .LBB0_67
; %bb.66:                               ;   in Loop: Header=BB0_62 Depth=5
	v_mov_b32_e32 v49, v8
	global_atomic_cmpswap v2, v[42:43], v[48:49], off glc
	s_waitcnt vmcnt(0)
	v_cmp_ne_u32_e32 vcc, 0, v2
	v_cndmask_b32_e32 v2, v48, v2, vcc
.LBB0_67:                               ;   in Loop: Header=BB0_62 Depth=5
	s_or_b64 exec, exec, s[20:21]
	v_readfirstlane_b32 s80, v2
	s_cmp_lg_u32 s71, s80
	s_cbranch_scc1 .LBB0_175
; %bb.68:                               ;   in Loop: Header=BB0_62 Depth=5
	v_mbcnt_lo_u32_b32 v3, exec_lo, 0
	v_mbcnt_hi_u32_b32 v3, exec_hi, v3
	v_mov_b32_e32 v2, 0
	v_cmp_eq_u32_e64 s[20:21], 0, v3
	s_and_saveexec_b64 s[22:23], s[20:21]
	s_cbranch_execz .LBB0_70
; %bb.69:                               ;   in Loop: Header=BB0_62 Depth=5
	global_load_dword v2, v[42:43], off glc
.LBB0_70:                               ;   in Loop: Header=BB0_62 Depth=5
	s_or_b64 exec, exec, s[22:23]
	s_waitcnt vmcnt(0)
	v_readfirstlane_b32 s82, v2
	s_cmp_eq_u32 s82, 0x10100
	s_mov_b32 s25, 2
	s_cbranch_scc1 .LBB0_155
; %bb.71:                               ;   in Loop: Header=BB0_62 Depth=5
	v_mov_b32_e32 v2, 1
	s_and_saveexec_b64 s[22:23], s[20:21]
	s_cbranch_execz .LBB0_75
; %bb.72:                               ;   in Loop: Header=BB0_62 Depth=5
	global_load_dwordx2 v[26:27], v[44:45], off glc
	s_memrealtime s[92:93]
	s_waitcnt lgkmcnt(0)
	v_mov_b32_e32 v3, s93
	s_waitcnt vmcnt(0)
	v_sub_co_u32_e32 v2, vcc, s92, v26
	v_subb_co_u32_e32 v3, vcc, v3, v27, vcc
	v_cmp_lt_u64_e32 vcc, s[58:59], v[2:3]
	v_mov_b32_e32 v2, 1
	s_and_saveexec_b64 s[26:27], vcc
	s_cbranch_execz .LBB0_74
; %bb.73:                               ;   in Loop: Header=BB0_62 Depth=5
	v_mov_b32_e32 v24, s92
	v_mov_b32_e32 v25, s93
	global_atomic_cmpswap_x2 v[2:3], v[44:45], v[24:27], off glc
	s_waitcnt vmcnt(0)
	v_cmp_eq_u64_e32 vcc, v[2:3], v[26:27]
	v_cndmask_b32_e64 v2, 1, 2, vcc
.LBB0_74:                               ;   in Loop: Header=BB0_62 Depth=5
	s_or_b64 exec, exec, s[26:27]
.LBB0_75:                               ;   in Loop: Header=BB0_62 Depth=5
	s_or_b64 exec, exec, s[22:23]
	v_readfirstlane_b32 s81, v2
	s_cmp_eq_u32 s81, 1
	s_mov_b32 s25, 1
	s_cbranch_scc1 .LBB0_155
; %bb.76:                               ;   in Loop: Header=BB0_62 Depth=5
	v_mov_b32_e32 v7, 0
	v_mov_b32_e32 v6, v7
	s_and_saveexec_b64 s[92:93], s[20:21]
	s_cbranch_execz .LBB0_105
; %bb.77:                               ;   in Loop: Header=BB0_62 Depth=5
	s_load_dwordx2 s[94:95], s[8:9], 0x50
	v_readfirstlane_b32 s22, v60
	v_mov_b32_e32 v6, 0
	v_mov_b32_e32 v7, 0
	v_cmp_eq_u32_e64 s[22:23], s22, v60
	s_and_saveexec_b64 s[26:27], s[22:23]
	s_cbranch_execz .LBB0_83
; %bb.78:                               ;   in Loop: Header=BB0_62 Depth=5
	s_waitcnt lgkmcnt(0)
	global_load_dwordx2 v[4:5], v8, s[94:95] offset:24 glc
	s_waitcnt vmcnt(0)
	buffer_wbinvl1_vol
	global_load_dwordx2 v[2:3], v8, s[94:95] offset:40
	global_load_dwordx2 v[6:7], v8, s[94:95]
	s_waitcnt vmcnt(1)
	v_and_b32_e32 v2, v2, v4
	v_and_b32_e32 v3, v3, v5
	v_mul_lo_u32 v3, v3, 24
	v_mul_hi_u32 v9, v2, 24
	v_mul_lo_u32 v2, v2, 24
	v_add_u32_e32 v3, v9, v3
	s_waitcnt vmcnt(0)
	v_add_co_u32_e32 v2, vcc, v6, v2
	v_addc_co_u32_e32 v3, vcc, v7, v3, vcc
	global_load_dwordx2 v[2:3], v[2:3], off glc
	s_waitcnt vmcnt(0)
	global_atomic_cmpswap_x2 v[6:7], v8, v[2:5], s[94:95] offset:24 glc
	s_waitcnt vmcnt(0)
	buffer_wbinvl1_vol
	v_cmp_ne_u64_e32 vcc, v[6:7], v[4:5]
	s_and_saveexec_b64 s[30:31], vcc
	s_cbranch_execz .LBB0_82
; %bb.79:                               ;   in Loop: Header=BB0_62 Depth=5
	s_mov_b64 s[34:35], 0
.LBB0_80:                               ;   Parent Loop BB0_3 Depth=1
                                        ;     Parent Loop BB0_6 Depth=2
                                        ;       Parent Loop BB0_11 Depth=3
                                        ;         Parent Loop BB0_37 Depth=4
                                        ;           Parent Loop BB0_62 Depth=5
                                        ; =>          This Inner Loop Header: Depth=6
	s_sleep 1
	global_load_dwordx2 v[2:3], v8, s[94:95] offset:40
	global_load_dwordx2 v[9:10], v8, s[94:95]
	v_mov_b32_e32 v4, v6
	v_mov_b32_e32 v5, v7
	s_waitcnt vmcnt(1)
	v_and_b32_e32 v2, v2, v4
	s_waitcnt vmcnt(0)
	v_mad_u64_u32 v[6:7], vcc, v2, 24, v[9:10]
	v_and_b32_e32 v3, v3, v5
	v_mov_b32_e32 v2, v7
	v_mad_u64_u32 v[2:3], vcc, v3, 24, v[2:3]
	v_mov_b32_e32 v7, v2
	global_load_dwordx2 v[2:3], v[6:7], off glc
	s_waitcnt vmcnt(0)
	global_atomic_cmpswap_x2 v[6:7], v8, v[2:5], s[94:95] offset:24 glc
	s_waitcnt vmcnt(0)
	buffer_wbinvl1_vol
	v_cmp_eq_u64_e32 vcc, v[6:7], v[4:5]
	s_or_b64 s[34:35], vcc, s[34:35]
	s_andn2_b64 exec, exec, s[34:35]
	s_cbranch_execnz .LBB0_80
; %bb.81:                               ;   in Loop: Header=BB0_62 Depth=5
	s_or_b64 exec, exec, s[34:35]
.LBB0_82:                               ;   in Loop: Header=BB0_62 Depth=5
	s_or_b64 exec, exec, s[30:31]
.LBB0_83:                               ;   in Loop: Header=BB0_62 Depth=5
	s_or_b64 exec, exec, s[26:27]
	s_waitcnt lgkmcnt(0)
	global_load_dwordx2 v[2:3], v8, s[94:95] offset:40
	global_load_dwordx4 v[24:27], v8, s[94:95]
	v_readfirstlane_b32 s31, v7
	v_readfirstlane_b32 s30, v6
	s_mov_b64 s[26:27], exec
	s_waitcnt vmcnt(1)
	v_readfirstlane_b32 vcc_lo, v2
	v_readfirstlane_b32 vcc_hi, v3
	s_and_b64 s[34:35], vcc, s[30:31]
	s_mul_i32 s25, s35, 24
	s_mul_hi_u32 vcc_lo, s34, 24
	s_mul_i32 vcc_hi, s34, 24
	s_add_i32 s25, vcc_lo, s25
	v_mov_b32_e32 v2, s25
	s_waitcnt vmcnt(0)
	v_add_co_u32_e32 v58, vcc, vcc_hi, v24
	v_addc_co_u32_e32 v59, vcc, v25, v2, vcc
	s_and_saveexec_b64 vcc, s[22:23]
	s_cbranch_execz .LBB0_85
; %bb.84:                               ;   in Loop: Header=BB0_62 Depth=5
	v_mov_b32_e32 v9, s26
	v_mov_b32_e32 v10, s27
	global_store_dwordx4 v[58:59], v[9:12], off offset:8
.LBB0_85:                               ;   in Loop: Header=BB0_62 Depth=5
	s_or_b64 exec, exec, vcc
	s_lshl_b64 s[26:27], s[34:35], 12
	v_mov_b32_e32 v2, s27
	v_add_co_u32_e32 v17, vcc, s26, v26
	v_addc_co_u32_e32 v2, vcc, v27, v2, vcc
	s_mov_b32 s25, s24
	s_mov_b32 s26, s24
	;; [unrolled: 1-line block ×3, first 2 shown]
	v_mov_b32_e32 v4, s24
	v_lshlrev_b32_e32 v3, 6, v60
	v_mov_b32_e32 v13, v8
	v_mov_b32_e32 v14, v8
	;; [unrolled: 1-line block ×3, first 2 shown]
	v_readfirstlane_b32 s34, v17
	v_readfirstlane_b32 s35, v2
	v_mov_b32_e32 v5, s25
	v_mov_b32_e32 v6, s26
	v_mov_b32_e32 v7, s27
	s_nop 1
	global_store_dwordx4 v3, v[13:16], s[34:35]
	global_store_dwordx4 v3, v[4:7], s[34:35] offset:16
	global_store_dwordx4 v3, v[4:7], s[34:35] offset:32
	;; [unrolled: 1-line block ×3, first 2 shown]
	s_and_saveexec_b64 s[26:27], s[22:23]
	s_cbranch_execz .LBB0_93
; %bb.86:                               ;   in Loop: Header=BB0_62 Depth=5
	global_load_dwordx2 v[34:35], v8, s[94:95] offset:32 glc
	global_load_dwordx2 v[4:5], v8, s[94:95] offset:40
	v_mov_b32_e32 v32, s30
	v_mov_b32_e32 v33, s31
	s_waitcnt vmcnt(0)
	v_and_b32_e32 v4, s30, v4
	v_and_b32_e32 v5, s31, v5
	v_mul_lo_u32 v5, v5, 24
	v_mul_hi_u32 v6, v4, 24
	v_mul_lo_u32 v4, v4, 24
	v_add_u32_e32 v5, v6, v5
	v_add_co_u32_e32 v6, vcc, v24, v4
	v_addc_co_u32_e32 v7, vcc, v25, v5, vcc
	global_store_dwordx2 v[6:7], v[34:35], off
	s_waitcnt vmcnt(0)
	global_atomic_cmpswap_x2 v[26:27], v8, v[32:35], s[94:95] offset:32 glc
	s_waitcnt vmcnt(0)
	v_cmp_ne_u64_e32 vcc, v[26:27], v[34:35]
	s_and_saveexec_b64 s[34:35], vcc
	s_cbranch_execz .LBB0_89
; %bb.87:                               ;   in Loop: Header=BB0_62 Depth=5
	s_mov_b64 s[36:37], 0
.LBB0_88:                               ;   Parent Loop BB0_3 Depth=1
                                        ;     Parent Loop BB0_6 Depth=2
                                        ;       Parent Loop BB0_11 Depth=3
                                        ;         Parent Loop BB0_37 Depth=4
                                        ;           Parent Loop BB0_62 Depth=5
                                        ; =>          This Inner Loop Header: Depth=6
	s_sleep 1
	global_store_dwordx2 v[6:7], v[26:27], off
	v_mov_b32_e32 v24, s30
	v_mov_b32_e32 v25, s31
	s_waitcnt vmcnt(0)
	global_atomic_cmpswap_x2 v[4:5], v8, v[24:27], s[94:95] offset:32 glc
	s_waitcnt vmcnt(0)
	v_cmp_eq_u64_e32 vcc, v[4:5], v[26:27]
	v_mov_b32_e32 v27, v5
	s_or_b64 s[36:37], vcc, s[36:37]
	v_mov_b32_e32 v26, v4
	s_andn2_b64 exec, exec, s[36:37]
	s_cbranch_execnz .LBB0_88
.LBB0_89:                               ;   in Loop: Header=BB0_62 Depth=5
	s_or_b64 exec, exec, s[34:35]
	global_load_dwordx2 v[9:10], v8, s[94:95] offset:16
	s_mov_b64 s[36:37], exec
	v_mbcnt_lo_u32_b32 v4, s36, 0
	v_mbcnt_hi_u32_b32 v4, s37, v4
	v_cmp_eq_u32_e32 vcc, 0, v4
	s_and_saveexec_b64 s[34:35], vcc
	s_cbranch_execz .LBB0_91
; %bb.90:                               ;   in Loop: Header=BB0_62 Depth=5
	s_bcnt1_i32_b64 s25, s[36:37]
	v_mov_b32_e32 v7, s25
	s_waitcnt vmcnt(0)
	global_atomic_add_x2 v[9:10], v[7:8], off offset:8
.LBB0_91:                               ;   in Loop: Header=BB0_62 Depth=5
	s_or_b64 exec, exec, s[34:35]
	s_waitcnt vmcnt(0)
	global_load_dwordx2 v[13:14], v[9:10], off offset:16
	s_waitcnt vmcnt(0)
	v_cmp_eq_u64_e32 vcc, 0, v[13:14]
	s_cbranch_vccnz .LBB0_93
; %bb.92:                               ;   in Loop: Header=BB0_62 Depth=5
	global_load_dword v7, v[9:10], off offset:24
	s_waitcnt vmcnt(0)
	v_readfirstlane_b32 s25, v7
	s_and_b32 m0, s25, 0xffffff
	global_store_dwordx2 v[13:14], v[7:8], off
	s_sendmsg sendmsg(MSG_INTERRUPT)
.LBB0_93:                               ;   in Loop: Header=BB0_62 Depth=5
	s_or_b64 exec, exec, s[26:27]
	v_add_co_u32_e32 v6, vcc, v17, v3
	v_addc_co_u32_e32 v7, vcc, 0, v2, vcc
.LBB0_94:                               ;   Parent Loop BB0_3 Depth=1
                                        ;     Parent Loop BB0_6 Depth=2
                                        ;       Parent Loop BB0_11 Depth=3
                                        ;         Parent Loop BB0_37 Depth=4
                                        ;           Parent Loop BB0_62 Depth=5
                                        ; =>          This Inner Loop Header: Depth=6
	v_mov_b32_e32 v2, 1
	s_and_saveexec_b64 s[26:27], s[22:23]
	s_cbranch_execz .LBB0_96
; %bb.95:                               ;   in Loop: Header=BB0_94 Depth=6
	global_load_dword v2, v[58:59], off offset:20 glc
	s_waitcnt vmcnt(0)
	buffer_wbinvl1_vol
	v_and_b32_e32 v2, 1, v2
.LBB0_96:                               ;   in Loop: Header=BB0_94 Depth=6
	s_or_b64 exec, exec, s[26:27]
	v_readfirstlane_b32 s25, v2
	s_cmp_eq_u32 s25, 0
	s_cbranch_scc1 .LBB0_98
; %bb.97:                               ;   in Loop: Header=BB0_94 Depth=6
	s_mov_b64 s[26:27], 0
	s_sleep 1
	s_branch .LBB0_99
.LBB0_98:                               ;   in Loop: Header=BB0_94 Depth=6
	s_mov_b64 s[26:27], -1
.LBB0_99:                               ;   in Loop: Header=BB0_94 Depth=6
	s_andn2_b64 vcc, exec, s[26:27]
	s_cbranch_vccnz .LBB0_94
; %bb.100:                              ;   in Loop: Header=BB0_62 Depth=5
	global_load_dwordx2 v[6:7], v[6:7], off
	s_and_saveexec_b64 s[26:27], s[22:23]
	s_cbranch_execz .LBB0_104
; %bb.101:                              ;   in Loop: Header=BB0_62 Depth=5
	global_load_dwordx2 v[2:3], v8, s[94:95] offset:40
	global_load_dwordx2 v[4:5], v8, s[94:95] offset:24 glc
	global_load_dwordx2 v[9:10], v8, s[94:95]
	s_waitcnt vmcnt(2)
	v_readfirstlane_b32 vcc_lo, v2
	v_readfirstlane_b32 vcc_hi, v3
	s_add_u32 s25, vcc_lo, 1
	s_addc_u32 s34, vcc_hi, 0
	s_add_u32 s22, s25, s30
	s_addc_u32 s23, s34, s31
	s_cmp_eq_u64 s[22:23], 0
	s_cselect_b32 s23, s34, s23
	s_cselect_b32 s22, s25, s22
	s_and_b64 vcc, s[22:23], vcc
	s_mul_i32 s25, vcc_hi, 24
	s_mul_hi_u32 vcc_hi, vcc_lo, 24
	s_mul_i32 vcc_lo, vcc_lo, 24
	s_add_i32 s25, vcc_hi, s25
	v_mov_b32_e32 v3, s25
	s_waitcnt vmcnt(0)
	v_add_co_u32_e32 v9, vcc, vcc_lo, v9
	v_addc_co_u32_e32 v10, vcc, v10, v3, vcc
	v_mov_b32_e32 v2, s22
	global_store_dwordx2 v[9:10], v[4:5], off
	v_mov_b32_e32 v3, s23
	s_waitcnt vmcnt(0)
	global_atomic_cmpswap_x2 v[26:27], v8, v[2:5], s[94:95] offset:24 glc
	s_waitcnt vmcnt(0)
	v_cmp_ne_u64_e32 vcc, v[26:27], v[4:5]
	s_and_b64 exec, exec, vcc
	s_cbranch_execz .LBB0_104
; %bb.102:                              ;   in Loop: Header=BB0_62 Depth=5
	s_mov_b64 s[30:31], 0
.LBB0_103:                              ;   Parent Loop BB0_3 Depth=1
                                        ;     Parent Loop BB0_6 Depth=2
                                        ;       Parent Loop BB0_11 Depth=3
                                        ;         Parent Loop BB0_37 Depth=4
                                        ;           Parent Loop BB0_62 Depth=5
                                        ; =>          This Inner Loop Header: Depth=6
	s_sleep 1
	global_store_dwordx2 v[9:10], v[26:27], off
	v_mov_b32_e32 v24, s22
	v_mov_b32_e32 v25, s23
	s_waitcnt vmcnt(0)
	global_atomic_cmpswap_x2 v[2:3], v8, v[24:27], s[94:95] offset:24 glc
	s_waitcnt vmcnt(0)
	v_cmp_eq_u64_e32 vcc, v[2:3], v[26:27]
	v_mov_b32_e32 v27, v3
	s_or_b64 s[30:31], vcc, s[30:31]
	v_mov_b32_e32 v26, v2
	s_andn2_b64 exec, exec, s[30:31]
	s_cbranch_execnz .LBB0_103
.LBB0_104:                              ;   in Loop: Header=BB0_62 Depth=5
	s_or_b64 exec, exec, s[26:27]
.LBB0_105:                              ;   in Loop: Header=BB0_62 Depth=5
	s_or_b64 exec, exec, s[92:93]
	s_waitcnt vmcnt(0)
	v_readfirstlane_b32 s26, v6
	v_readfirstlane_b32 s27, v7
	s_cmp_eq_u64 s[26:27], 0
	s_cbranch_scc1 .LBB0_154
; %bb.106:                              ;   in Loop: Header=BB0_62 Depth=5
	s_mov_b64 s[22:23], exec
	v_mbcnt_lo_u32_b32 v2, exec_lo, 0
	v_mbcnt_hi_u32_b32 v2, s23, v2
	v_cmp_gt_u32_e32 vcc, s64, v2
	s_and_saveexec_b64 s[92:93], vcc
	s_cbranch_execz .LBB0_109
; %bb.107:                              ;   in Loop: Header=BB0_62 Depth=5
	v_lshlrev_b32_e32 v3, 3, v2
	s_bcnt1_i32_b64 s25, s[22:23]
	v_mov_b32_e32 v4, s27
	v_add_co_u32_e32 v6, vcc, s26, v3
	v_addc_co_u32_e32 v7, vcc, 0, v4, vcc
	s_lshl_b32 s30, s25, 3
	s_mov_b64 s[94:95], 0
.LBB0_108:                              ;   Parent Loop BB0_3 Depth=1
                                        ;     Parent Loop BB0_6 Depth=2
                                        ;       Parent Loop BB0_11 Depth=3
                                        ;         Parent Loop BB0_37 Depth=4
                                        ;           Parent Loop BB0_62 Depth=5
                                        ; =>          This Inner Loop Header: Depth=6
	v_mov_b32_e32 v9, v8
	v_add_u32_e32 v2, s25, v2
	global_store_dwordx2 v[6:7], v[8:9], off
	v_add_co_u32_e32 v6, vcc, s30, v6
	v_cmp_lt_u32_e64 s[22:23], s65, v2
	s_or_b64 s[94:95], s[22:23], s[94:95]
	v_addc_co_u32_e32 v7, vcc, 0, v7, vcc
	s_andn2_b64 exec, exec, s[94:95]
	s_cbranch_execnz .LBB0_108
.LBB0_109:                              ;   in Loop: Header=BB0_62 Depth=5
	s_or_b64 exec, exec, s[92:93]
.LBB0_110:                              ;   Parent Loop BB0_3 Depth=1
                                        ;     Parent Loop BB0_6 Depth=2
                                        ;       Parent Loop BB0_11 Depth=3
                                        ;         Parent Loop BB0_37 Depth=4
                                        ;           Parent Loop BB0_62 Depth=5
                                        ; =>          This Inner Loop Header: Depth=6
	v_mov_b32_e32 v2, s82
	s_and_saveexec_b64 s[22:23], s[20:21]
	s_cbranch_execz .LBB0_112
; %bb.111:                              ;   in Loop: Header=BB0_110 Depth=6
	global_load_dword v2, v[42:43], off glc
.LBB0_112:                              ;   in Loop: Header=BB0_110 Depth=6
	s_or_b64 exec, exec, s[22:23]
	s_waitcnt vmcnt(0)
	v_readfirstlane_b32 s82, v2
	s_cmp_lg_u32 s82, 0x10100
	s_mov_b64 s[22:23], -1
	s_cbranch_scc0 .LBB0_119
; %bb.113:                              ;   in Loop: Header=BB0_110 Depth=6
	v_mov_b32_e32 v2, s81
	s_and_saveexec_b64 s[22:23], s[20:21]
	s_cbranch_execz .LBB0_117
; %bb.114:                              ;   in Loop: Header=BB0_110 Depth=6
	s_add_i32 s25, s82, 0xffffff00
	s_lshr_b32 s25, s25, 8
	v_mad_u64_u32 v[2:3], s[92:93], s25, 24, v[40:41]
	v_mov_b32_e32 v6, s26
	v_mov_b32_e32 v7, s27
	;; [unrolled: 1-line block ×3, first 2 shown]
	global_atomic_cmpswap_x2 v[2:3], v[2:3], v[6:9], off glc
	s_waitcnt vmcnt(0)
	v_cmp_eq_u64_e32 vcc, 0, v[2:3]
	v_mov_b32_e32 v2, s81
	s_and_saveexec_b64 s[92:93], vcc
	s_cbranch_execz .LBB0_116
; %bb.115:                              ;   in Loop: Header=BB0_110 Depth=6
	global_atomic_add v[42:43], v48, off
	v_mov_b32_e32 v2, 0
.LBB0_116:                              ;   in Loop: Header=BB0_110 Depth=6
	s_or_b64 exec, exec, s[92:93]
.LBB0_117:                              ;   in Loop: Header=BB0_110 Depth=6
	s_or_b64 exec, exec, s[22:23]
	v_readfirstlane_b32 s22, v2
	s_cmp_eq_u32 s22, 0
	s_cbranch_scc1 .LBB0_120
; %bb.118:                              ;   in Loop: Header=BB0_110 Depth=6
	s_mov_b64 s[92:93], 0
	s_mov_b32 s81, s22
	s_sleep 2
	s_branch .LBB0_121
.LBB0_119:                              ;   in Loop: Header=BB0_110 Depth=6
	s_mov_b64 s[92:93], -1
	s_branch .LBB0_122
.LBB0_120:                              ;   in Loop: Header=BB0_110 Depth=6
	s_mov_b64 s[92:93], -1
.LBB0_121:                              ;   in Loop: Header=BB0_110 Depth=6
	s_mov_b64 s[22:23], 0
.LBB0_122:                              ;   in Loop: Header=BB0_110 Depth=6
	s_and_b64 vcc, exec, s[92:93]
	s_cbranch_vccz .LBB0_110
; %bb.123:                              ;   in Loop: Header=BB0_62 Depth=5
	s_mov_b32 s25, 0
	s_and_b64 vcc, exec, s[22:23]
	s_cbranch_vccz .LBB0_153
; %bb.124:                              ;   in Loop: Header=BB0_62 Depth=5
	s_and_saveexec_b64 s[22:23], s[20:21]
	s_cbranch_execz .LBB0_152
; %bb.125:                              ;   in Loop: Header=BB0_62 Depth=5
	s_load_dwordx2 s[92:93], s[8:9], 0x50
	v_readfirstlane_b32 s20, v60
	v_mov_b32_e32 v6, 0
	v_mov_b32_e32 v7, 0
	v_cmp_eq_u32_e64 s[20:21], s20, v60
	s_and_saveexec_b64 s[94:95], s[20:21]
	s_cbranch_execz .LBB0_131
; %bb.126:                              ;   in Loop: Header=BB0_62 Depth=5
	s_waitcnt lgkmcnt(0)
	global_load_dwordx2 v[4:5], v8, s[92:93] offset:24 glc
	s_waitcnt vmcnt(0)
	buffer_wbinvl1_vol
	global_load_dwordx2 v[2:3], v8, s[92:93] offset:40
	global_load_dwordx2 v[6:7], v8, s[92:93]
	s_waitcnt vmcnt(1)
	v_and_b32_e32 v2, v2, v4
	v_and_b32_e32 v3, v3, v5
	v_mul_lo_u32 v3, v3, 24
	v_mul_hi_u32 v9, v2, 24
	v_mul_lo_u32 v2, v2, 24
	v_add_u32_e32 v3, v9, v3
	s_waitcnt vmcnt(0)
	v_add_co_u32_e32 v2, vcc, v6, v2
	v_addc_co_u32_e32 v3, vcc, v7, v3, vcc
	global_load_dwordx2 v[2:3], v[2:3], off glc
	s_waitcnt vmcnt(0)
	global_atomic_cmpswap_x2 v[6:7], v8, v[2:5], s[92:93] offset:24 glc
	s_waitcnt vmcnt(0)
	buffer_wbinvl1_vol
	v_cmp_ne_u64_e32 vcc, v[6:7], v[4:5]
	s_and_saveexec_b64 s[30:31], vcc
	s_cbranch_execz .LBB0_130
; %bb.127:                              ;   in Loop: Header=BB0_62 Depth=5
	s_mov_b64 s[34:35], 0
.LBB0_128:                              ;   Parent Loop BB0_3 Depth=1
                                        ;     Parent Loop BB0_6 Depth=2
                                        ;       Parent Loop BB0_11 Depth=3
                                        ;         Parent Loop BB0_37 Depth=4
                                        ;           Parent Loop BB0_62 Depth=5
                                        ; =>          This Inner Loop Header: Depth=6
	s_sleep 1
	global_load_dwordx2 v[2:3], v8, s[92:93] offset:40
	global_load_dwordx2 v[9:10], v8, s[92:93]
	v_mov_b32_e32 v4, v6
	v_mov_b32_e32 v5, v7
	s_waitcnt vmcnt(1)
	v_and_b32_e32 v2, v2, v4
	s_waitcnt vmcnt(0)
	v_mad_u64_u32 v[6:7], vcc, v2, 24, v[9:10]
	v_and_b32_e32 v3, v3, v5
	v_mov_b32_e32 v2, v7
	v_mad_u64_u32 v[2:3], vcc, v3, 24, v[2:3]
	v_mov_b32_e32 v7, v2
	global_load_dwordx2 v[2:3], v[6:7], off glc
	s_waitcnt vmcnt(0)
	global_atomic_cmpswap_x2 v[6:7], v8, v[2:5], s[92:93] offset:24 glc
	s_waitcnt vmcnt(0)
	buffer_wbinvl1_vol
	v_cmp_eq_u64_e32 vcc, v[6:7], v[4:5]
	s_or_b64 s[34:35], vcc, s[34:35]
	s_andn2_b64 exec, exec, s[34:35]
	s_cbranch_execnz .LBB0_128
; %bb.129:                              ;   in Loop: Header=BB0_62 Depth=5
	s_or_b64 exec, exec, s[34:35]
.LBB0_130:                              ;   in Loop: Header=BB0_62 Depth=5
	s_or_b64 exec, exec, s[30:31]
.LBB0_131:                              ;   in Loop: Header=BB0_62 Depth=5
	s_or_b64 exec, exec, s[94:95]
	s_waitcnt lgkmcnt(0)
	global_load_dwordx2 v[2:3], v8, s[92:93] offset:40
	global_load_dwordx4 v[24:27], v8, s[92:93]
	v_readfirstlane_b32 s95, v7
	v_readfirstlane_b32 s94, v6
	s_mov_b64 s[30:31], exec
	s_waitcnt vmcnt(1)
	v_readfirstlane_b32 vcc_lo, v2
	v_readfirstlane_b32 vcc_hi, v3
	s_and_b64 s[34:35], vcc, s[94:95]
	s_mul_i32 s25, s35, 24
	s_mul_hi_u32 vcc_lo, s34, 24
	s_mul_i32 vcc_hi, s34, 24
	s_add_i32 s25, vcc_lo, s25
	v_mov_b32_e32 v2, s25
	s_waitcnt vmcnt(0)
	v_add_co_u32_e32 v13, vcc, vcc_hi, v24
	v_addc_co_u32_e32 v14, vcc, v25, v2, vcc
	s_and_saveexec_b64 vcc, s[20:21]
	s_cbranch_execz .LBB0_133
; %bb.132:                              ;   in Loop: Header=BB0_62 Depth=5
	v_mov_b32_e32 v9, s30
	v_mov_b32_e32 v10, s31
	global_store_dwordx4 v[13:14], v[9:12], off offset:8
.LBB0_133:                              ;   in Loop: Header=BB0_62 Depth=5
	s_or_b64 exec, exec, vcc
	s_lshl_b64 vcc, s[34:35], 12
	v_mov_b32_e32 v2, vcc_hi
	v_add_co_u32_e32 v4, vcc, vcc_lo, v26
	v_addc_co_u32_e32 v5, vcc, v27, v2, vcc
	v_mov_b32_e32 v2, s26
	v_lshlrev_b32_e32 v6, 6, v60
	v_mov_b32_e32 v3, s27
	v_readfirstlane_b32 s30, v4
	v_readfirstlane_b32 s31, v5
	s_mov_b32 s25, s24
	s_mov_b32 s26, s24
	;; [unrolled: 1-line block ×3, first 2 shown]
	v_mov_b32_e32 v9, v8
	s_nop 0
	global_store_dwordx2 v6, v[2:3], s[30:31]
	v_mov_b32_e32 v2, s24
	v_mov_b32_e32 v3, s25
	v_mov_b32_e32 v4, s26
	v_mov_b32_e32 v5, s27
	global_store_dwordx4 v6, v[2:5], s[30:31] offset:8
	global_store_dwordx4 v6, v[2:5], s[30:31] offset:24
	;; [unrolled: 1-line block ×3, first 2 shown]
	global_store_dwordx2 v6, v[8:9], s[30:31] offset:56
	s_and_saveexec_b64 s[26:27], s[20:21]
	s_cbranch_execz .LBB0_141
; %bb.134:                              ;   in Loop: Header=BB0_62 Depth=5
	global_load_dwordx2 v[4:5], v8, s[92:93] offset:32 glc
	global_load_dwordx2 v[2:3], v8, s[92:93] offset:40
	s_waitcnt vmcnt(0)
	v_and_b32_e32 v2, s94, v2
	v_and_b32_e32 v3, s95, v3
	v_mul_lo_u32 v3, v3, 24
	v_mul_hi_u32 v6, v2, 24
	v_mul_lo_u32 v7, v2, 24
	v_mov_b32_e32 v2, s94
	v_add_u32_e32 v3, v6, v3
	v_add_co_u32_e32 v6, vcc, v24, v7
	v_addc_co_u32_e32 v7, vcc, v25, v3, vcc
	global_store_dwordx2 v[6:7], v[4:5], off
	v_mov_b32_e32 v3, s95
	s_waitcnt vmcnt(0)
	global_atomic_cmpswap_x2 v[26:27], v8, v[2:5], s[92:93] offset:32 glc
	s_waitcnt vmcnt(0)
	v_cmp_ne_u64_e32 vcc, v[26:27], v[4:5]
	s_and_saveexec_b64 s[30:31], vcc
	s_cbranch_execz .LBB0_137
; %bb.135:                              ;   in Loop: Header=BB0_62 Depth=5
	s_mov_b64 s[34:35], 0
.LBB0_136:                              ;   Parent Loop BB0_3 Depth=1
                                        ;     Parent Loop BB0_6 Depth=2
                                        ;       Parent Loop BB0_11 Depth=3
                                        ;         Parent Loop BB0_37 Depth=4
                                        ;           Parent Loop BB0_62 Depth=5
                                        ; =>          This Inner Loop Header: Depth=6
	s_sleep 1
	global_store_dwordx2 v[6:7], v[26:27], off
	v_mov_b32_e32 v24, s94
	v_mov_b32_e32 v25, s95
	s_waitcnt vmcnt(0)
	global_atomic_cmpswap_x2 v[2:3], v8, v[24:27], s[92:93] offset:32 glc
	s_waitcnt vmcnt(0)
	v_cmp_eq_u64_e32 vcc, v[2:3], v[26:27]
	v_mov_b32_e32 v27, v3
	s_or_b64 s[34:35], vcc, s[34:35]
	v_mov_b32_e32 v26, v2
	s_andn2_b64 exec, exec, s[34:35]
	s_cbranch_execnz .LBB0_136
.LBB0_137:                              ;   in Loop: Header=BB0_62 Depth=5
	s_or_b64 exec, exec, s[30:31]
	global_load_dwordx2 v[9:10], v8, s[92:93] offset:16
	s_mov_b64 s[34:35], exec
	v_mbcnt_lo_u32_b32 v2, s34, 0
	v_mbcnt_hi_u32_b32 v2, s35, v2
	v_cmp_eq_u32_e32 vcc, 0, v2
	s_and_saveexec_b64 s[30:31], vcc
	s_cbranch_execz .LBB0_139
; %bb.138:                              ;   in Loop: Header=BB0_62 Depth=5
	s_bcnt1_i32_b64 s25, s[34:35]
	v_mov_b32_e32 v7, s25
	s_waitcnt vmcnt(0)
	global_atomic_add_x2 v[9:10], v[7:8], off offset:8
.LBB0_139:                              ;   in Loop: Header=BB0_62 Depth=5
	s_or_b64 exec, exec, s[30:31]
	s_waitcnt vmcnt(0)
	global_load_dwordx2 v[16:17], v[9:10], off offset:16
	s_waitcnt vmcnt(0)
	v_cmp_eq_u64_e32 vcc, 0, v[16:17]
	s_cbranch_vccnz .LBB0_141
; %bb.140:                              ;   in Loop: Header=BB0_62 Depth=5
	global_load_dword v7, v[9:10], off offset:24
	s_waitcnt vmcnt(0)
	v_readfirstlane_b32 s25, v7
	s_and_b32 m0, s25, 0xffffff
	global_store_dwordx2 v[16:17], v[7:8], off
	s_sendmsg sendmsg(MSG_INTERRUPT)
.LBB0_141:                              ;   in Loop: Header=BB0_62 Depth=5
	s_or_b64 exec, exec, s[26:27]
.LBB0_142:                              ;   Parent Loop BB0_3 Depth=1
                                        ;     Parent Loop BB0_6 Depth=2
                                        ;       Parent Loop BB0_11 Depth=3
                                        ;         Parent Loop BB0_37 Depth=4
                                        ;           Parent Loop BB0_62 Depth=5
                                        ; =>          This Inner Loop Header: Depth=6
	v_mov_b32_e32 v2, 1
	s_and_saveexec_b64 s[26:27], s[20:21]
	s_cbranch_execz .LBB0_144
; %bb.143:                              ;   in Loop: Header=BB0_142 Depth=6
	global_load_dword v2, v[13:14], off offset:20 glc
	s_waitcnt vmcnt(0)
	buffer_wbinvl1_vol
	v_and_b32_e32 v2, 1, v2
.LBB0_144:                              ;   in Loop: Header=BB0_142 Depth=6
	s_or_b64 exec, exec, s[26:27]
	v_readfirstlane_b32 s25, v2
	s_cmp_eq_u32 s25, 0
	s_cbranch_scc1 .LBB0_146
; %bb.145:                              ;   in Loop: Header=BB0_142 Depth=6
	s_mov_b64 s[26:27], 0
	s_sleep 1
	s_branch .LBB0_147
.LBB0_146:                              ;   in Loop: Header=BB0_142 Depth=6
	s_mov_b64 s[26:27], -1
.LBB0_147:                              ;   in Loop: Header=BB0_142 Depth=6
	s_andn2_b64 vcc, exec, s[26:27]
	s_cbranch_vccnz .LBB0_142
; %bb.148:                              ;   in Loop: Header=BB0_62 Depth=5
	s_and_b64 exec, exec, s[20:21]
	s_cbranch_execz .LBB0_152
; %bb.149:                              ;   in Loop: Header=BB0_62 Depth=5
	global_load_dwordx2 v[2:3], v8, s[92:93] offset:40
	global_load_dwordx2 v[4:5], v8, s[92:93] offset:24 glc
	global_load_dwordx2 v[6:7], v8, s[92:93]
	s_waitcnt vmcnt(2)
	v_readfirstlane_b32 s26, v2
	v_readfirstlane_b32 s27, v3
	s_add_u32 s25, s26, 1
	s_addc_u32 vcc_lo, s27, 0
	s_add_u32 s20, s25, s94
	s_addc_u32 s21, vcc_lo, s95
	s_cmp_eq_u64 s[20:21], 0
	s_cselect_b32 s21, vcc_lo, s21
	s_cselect_b32 s20, s25, s20
	s_and_b64 s[26:27], s[20:21], s[26:27]
	s_mul_i32 s25, s27, 24
	s_mul_hi_u32 s27, s26, 24
	s_mul_i32 s26, s26, 24
	s_add_i32 s25, s27, s25
	v_mov_b32_e32 v3, s25
	s_waitcnt vmcnt(0)
	v_add_co_u32_e32 v6, vcc, s26, v6
	v_addc_co_u32_e32 v7, vcc, v7, v3, vcc
	v_mov_b32_e32 v2, s20
	global_store_dwordx2 v[6:7], v[4:5], off
	v_mov_b32_e32 v3, s21
	s_waitcnt vmcnt(0)
	global_atomic_cmpswap_x2 v[26:27], v8, v[2:5], s[92:93] offset:24 glc
	s_waitcnt vmcnt(0)
	v_cmp_ne_u64_e32 vcc, v[26:27], v[4:5]
	s_and_b64 exec, exec, vcc
	s_cbranch_execz .LBB0_152
; %bb.150:                              ;   in Loop: Header=BB0_62 Depth=5
	s_mov_b64 s[26:27], 0
.LBB0_151:                              ;   Parent Loop BB0_3 Depth=1
                                        ;     Parent Loop BB0_6 Depth=2
                                        ;       Parent Loop BB0_11 Depth=3
                                        ;         Parent Loop BB0_37 Depth=4
                                        ;           Parent Loop BB0_62 Depth=5
                                        ; =>          This Inner Loop Header: Depth=6
	s_sleep 1
	global_store_dwordx2 v[6:7], v[26:27], off
	v_mov_b32_e32 v24, s20
	v_mov_b32_e32 v25, s21
	s_waitcnt vmcnt(0)
	global_atomic_cmpswap_x2 v[2:3], v8, v[24:27], s[92:93] offset:24 glc
	s_waitcnt vmcnt(0)
	v_cmp_eq_u64_e32 vcc, v[2:3], v[26:27]
	v_mov_b32_e32 v27, v3
	s_or_b64 s[26:27], vcc, s[26:27]
	v_mov_b32_e32 v26, v2
	s_andn2_b64 exec, exec, s[26:27]
	s_cbranch_execnz .LBB0_151
.LBB0_152:                              ;   in Loop: Header=BB0_62 Depth=5
	s_or_b64 exec, exec, s[22:23]
	s_mov_b32 s25, s81
.LBB0_153:                              ;   in Loop: Header=BB0_62 Depth=5
	s_mov_b32 s81, s25
.LBB0_154:                              ;   in Loop: Header=BB0_62 Depth=5
	s_mov_b32 s25, s81
.LBB0_155:                              ;   in Loop: Header=BB0_62 Depth=5
	s_cmp_eq_u32 s25, 0
	s_cselect_b64 s[20:21], -1, 0
	s_and_b64 vcc, exec, s[20:21]
	s_cbranch_vccnz .LBB0_176
; %bb.156:                              ;   in Loop: Header=BB0_62 Depth=5
	v_mbcnt_lo_u32_b32 v2, exec_lo, 0
	v_mbcnt_hi_u32_b32 v2, exec_hi, v2
	v_cmp_eq_u32_e32 vcc, 0, v2
	s_and_saveexec_b64 s[22:23], vcc
	s_cbranch_execz .LBB0_173
; %bb.157:                              ;   in Loop: Header=BB0_62 Depth=5
	global_load_dwordx2 v[2:3], v[44:45], off glc
	s_memrealtime s[26:27]
	s_waitcnt lgkmcnt(0)
	v_mov_b32_e32 v4, s27
	s_waitcnt vmcnt(0)
	v_sub_co_u32_e32 v6, vcc, s26, v2
	v_subb_co_u32_e32 v7, vcc, v4, v3, vcc
	v_cmp_gt_u64_e32 vcc, s[60:61], v[6:7]
	s_and_b64 exec, exec, vcc
	s_cbranch_execz .LBB0_173
; %bb.158:                              ;   in Loop: Header=BB0_62 Depth=5
	s_memrealtime s[92:93]
	v_readfirstlane_b32 s26, v6
	s_sub_i32 s26, 0x7530, s26
	s_waitcnt lgkmcnt(0)
	s_add_u32 s26, s26, s92
	s_addc_u32 s27, 0, s93
	s_add_u32 s94, s92, 0x659
	s_addc_u32 s95, 0, s93
.LBB0_159:                              ;   Parent Loop BB0_3 Depth=1
                                        ;     Parent Loop BB0_6 Depth=2
                                        ;       Parent Loop BB0_11 Depth=3
                                        ;         Parent Loop BB0_37 Depth=4
                                        ;           Parent Loop BB0_62 Depth=5
                                        ; =>          This Inner Loop Header: Depth=6
	v_mov_b32_e32 v2, s94
	v_mov_b32_e32 v3, s95
	v_cmp_le_u64_e32 vcc, s[26:27], v[2:3]
	s_cbranch_vccnz .LBB0_162
; %bb.160:                              ;   in Loop: Header=BB0_159 Depth=6
	s_sleep 0x7f
	s_memrealtime s[92:93]
	s_waitcnt lgkmcnt(0)
	s_add_u32 s94, s92, 0x659
	s_addc_u32 s95, s93, 0
	s_branch .LBB0_159
.LBB0_161:                              ;   in Loop: Header=BB0_162 Depth=6
	s_sleep 63
	s_memrealtime s[92:93]
.LBB0_162:                              ;   Parent Loop BB0_3 Depth=1
                                        ;     Parent Loop BB0_6 Depth=2
                                        ;       Parent Loop BB0_11 Depth=3
                                        ;         Parent Loop BB0_37 Depth=4
                                        ;           Parent Loop BB0_62 Depth=5
                                        ; =>          This Inner Loop Header: Depth=6
	s_waitcnt lgkmcnt(0)
	s_add_u32 s94, s92, 0x326
	s_addc_u32 s95, s93, 0
	v_mov_b32_e32 v2, s94
	v_mov_b32_e32 v3, s95
	v_cmp_le_u64_e32 vcc, s[26:27], v[2:3]
	s_cbranch_vccz .LBB0_161
; %bb.163:                              ;   in Loop: Header=BB0_62 Depth=5
	s_add_u32 s94, s92, 0x18c
	s_addc_u32 s95, s93, 0
	v_mov_b32_e32 v2, s94
	v_mov_b32_e32 v3, s95
	v_cmp_le_u64_e32 vcc, s[26:27], v[2:3]
	s_cbranch_vccnz .LBB0_166
.LBB0_164:                              ;   Parent Loop BB0_3 Depth=1
                                        ;     Parent Loop BB0_6 Depth=2
                                        ;       Parent Loop BB0_11 Depth=3
                                        ;         Parent Loop BB0_37 Depth=4
                                        ;           Parent Loop BB0_62 Depth=5
                                        ; =>          This Inner Loop Header: Depth=6
	s_sleep 31
	s_memrealtime s[92:93]
	s_waitcnt lgkmcnt(0)
	s_add_u32 s94, s92, 0x18c
	s_addc_u32 s95, s93, 0
	v_mov_b32_e32 v2, s94
	v_mov_b32_e32 v3, s95
	v_cmp_gt_u64_e32 vcc, s[26:27], v[2:3]
	s_cbranch_vccnz .LBB0_164
	s_branch .LBB0_166
.LBB0_165:                              ;   in Loop: Header=BB0_166 Depth=6
	s_sleep 15
	s_memrealtime s[92:93]
.LBB0_166:                              ;   Parent Loop BB0_3 Depth=1
                                        ;     Parent Loop BB0_6 Depth=2
                                        ;       Parent Loop BB0_11 Depth=3
                                        ;         Parent Loop BB0_37 Depth=4
                                        ;           Parent Loop BB0_62 Depth=5
                                        ; =>          This Inner Loop Header: Depth=6
	s_waitcnt lgkmcnt(0)
	s_add_u32 s94, s92, 0xc0
	s_addc_u32 s95, s93, 0
	v_mov_b32_e32 v2, s94
	v_mov_b32_e32 v3, s95
	v_cmp_le_u64_e32 vcc, s[26:27], v[2:3]
	s_cbranch_vccz .LBB0_165
	s_branch .LBB0_168
.LBB0_167:                              ;   in Loop: Header=BB0_168 Depth=6
	s_sleep 7
	s_memrealtime s[92:93]
.LBB0_168:                              ;   Parent Loop BB0_3 Depth=1
                                        ;     Parent Loop BB0_6 Depth=2
                                        ;       Parent Loop BB0_11 Depth=3
                                        ;         Parent Loop BB0_37 Depth=4
                                        ;           Parent Loop BB0_62 Depth=5
                                        ; =>          This Inner Loop Header: Depth=6
	s_waitcnt lgkmcnt(0)
	s_add_u32 s94, s92, 0x59
	s_addc_u32 s95, s93, 0
	v_mov_b32_e32 v2, s94
	v_mov_b32_e32 v3, s95
	v_cmp_le_u64_e32 vcc, s[26:27], v[2:3]
	s_cbranch_vccz .LBB0_167
	;; [unrolled: 17-line block ×3, first 2 shown]
; %bb.171:                              ;   in Loop: Header=BB0_62 Depth=5
	v_mov_b32_e32 v2, s92
	v_mov_b32_e32 v3, s93
	v_cmp_le_u64_e32 vcc, s[26:27], v[2:3]
	s_cbranch_vccnz .LBB0_173
.LBB0_172:                              ;   Parent Loop BB0_3 Depth=1
                                        ;     Parent Loop BB0_6 Depth=2
                                        ;       Parent Loop BB0_11 Depth=3
                                        ;         Parent Loop BB0_37 Depth=4
                                        ;           Parent Loop BB0_62 Depth=5
                                        ; =>          This Inner Loop Header: Depth=6
	s_sleep 1
	s_memrealtime s[92:93]
	s_waitcnt lgkmcnt(0)
	v_mov_b32_e32 v2, s92
	v_mov_b32_e32 v3, s93
	v_cmp_gt_u64_e32 vcc, s[26:27], v[2:3]
	s_cbranch_vccnz .LBB0_172
.LBB0_173:                              ;   in Loop: Header=BB0_62 Depth=5
	s_or_b64 exec, exec, s[22:23]
	s_cmp_lg_u32 s25, 2
	s_cselect_b64 s[22:23], -1, 0
	v_cndmask_b32_e64 v56, 0, 1, s[22:23]
	v_mov_b32_e32 v57, s24
	s_branch .LBB0_176
.LBB0_174:                              ;   in Loop: Header=BB0_62 Depth=5
	v_mov_b32_e32 v56, 0
	v_mov_b32_e32 v57, 0
	s_mov_b64 s[26:27], 0
	s_branch .LBB0_290
.LBB0_175:                              ;   in Loop: Header=BB0_62 Depth=5
	s_mov_b64 s[20:21], -1
.LBB0_176:                              ;   in Loop: Header=BB0_62 Depth=5
	s_mov_b64 s[26:27], 0
	s_and_b64 vcc, exec, s[20:21]
	s_cbranch_vccz .LBB0_290
; %bb.177:                              ;   in Loop: Header=BB0_62 Depth=5
	v_mov_b32_e32 v2, 1
	s_and_saveexec_b64 s[20:21], s[18:19]
	s_cbranch_execz .LBB0_181
; %bb.178:                              ;   in Loop: Header=BB0_62 Depth=5
	global_load_dwordx2 v[26:27], v[46:47], off glc
	s_memrealtime s[26:27]
	s_waitcnt lgkmcnt(0)
	v_mov_b32_e32 v3, s27
	s_waitcnt vmcnt(0)
	v_sub_co_u32_e32 v2, vcc, s26, v26
	v_subb_co_u32_e32 v3, vcc, v3, v27, vcc
	v_cmp_lt_u64_e32 vcc, s[62:63], v[2:3]
	v_mov_b32_e32 v2, 1
	s_and_saveexec_b64 s[22:23], vcc
	s_cbranch_execz .LBB0_180
; %bb.179:                              ;   in Loop: Header=BB0_62 Depth=5
	v_mov_b32_e32 v24, s26
	v_mov_b32_e32 v25, s27
	global_atomic_cmpswap_x2 v[2:3], v[46:47], v[24:27], off glc
	s_waitcnt vmcnt(0)
	v_cmp_ne_u64_e32 vcc, v[2:3], v[26:27]
	v_cndmask_b32_e64 v2, 0, 1, vcc
.LBB0_180:                              ;   in Loop: Header=BB0_62 Depth=5
	s_or_b64 exec, exec, s[22:23]
.LBB0_181:                              ;   in Loop: Header=BB0_62 Depth=5
	s_or_b64 exec, exec, s[20:21]
	v_readfirstlane_b32 s20, v2
	s_mov_b32 s21, s24
	v_mov_b32_e32 v13, s20
	s_mov_b64 s[26:27], 0
	s_cmp_lg_u64 s[20:21], 0
	v_mov_b32_e32 v14, s21
	s_cbranch_scc1 .LBB0_289
; %bb.182:                              ;   in Loop: Header=BB0_62 Depth=5
	v_mov_b32_e32 v13, 0
	v_mov_b32_e32 v6, 0
	;; [unrolled: 1-line block ×4, first 2 shown]
	s_and_saveexec_b64 s[22:23], s[18:19]
	s_cbranch_execz .LBB0_217
; %bb.183:                              ;   in Loop: Header=BB0_62 Depth=5
	global_load_dwordx2 v[2:3], v8, s[46:47] glc
	global_load_dwordx2 v[9:10], v8, s[56:57]
	s_mov_b64 s[20:21], -1
                                        ; implicit-def: $vgpr6_vgpr7
	s_waitcnt vmcnt(0)
	v_cmp_ge_u64_e32 vcc, v[2:3], v[9:10]
	s_cbranch_vccnz .LBB0_187
; %bb.184:                              ;   in Loop: Header=BB0_62 Depth=5
	s_mov_b64 s[26:27], exec
	v_mbcnt_lo_u32_b32 v2, s26, 0
	v_mbcnt_hi_u32_b32 v2, s27, v2
	v_cmp_eq_u32_e32 vcc, 0, v2
                                        ; implicit-def: $vgpr6_vgpr7
	s_and_saveexec_b64 s[20:21], vcc
	s_cbranch_execz .LBB0_186
; %bb.185:                              ;   in Loop: Header=BB0_62 Depth=5
	s_bcnt1_i32_b64 s25, s[26:27]
	s_lshl_b32 s25, s25, 21
	v_mov_b32_e32 v7, s25
	global_atomic_add_x2 v[6:7], v8, v[7:8], s[46:47] glc
.LBB0_186:                              ;   in Loop: Header=BB0_62 Depth=5
	s_or_b64 exec, exec, s[20:21]
	s_waitcnt vmcnt(0)
	v_readfirstlane_b32 s20, v7
	v_readfirstlane_b32 s21, v6
	v_mov_b32_e32 v3, s21
	v_mov_b32_e32 v4, s20
	v_mad_u64_u32 v[6:7], s[20:21], v2, s66, v[3:4]
	v_cmp_ge_u64_e64 s[20:21], v[6:7], v[9:10]
.LBB0_187:                              ;   in Loop: Header=BB0_62 Depth=5
	s_and_saveexec_b64 s[92:93], s[20:21]
	s_cbranch_execz .LBB0_216
; %bb.188:                              ;   in Loop: Header=BB0_62 Depth=5
	s_load_dwordx2 s[94:95], s[8:9], 0x50
	v_readfirstlane_b32 s20, v60
	v_mov_b32_e32 v6, 0
	v_mov_b32_e32 v7, 0
	v_cmp_eq_u32_e64 s[20:21], s20, v60
	s_and_saveexec_b64 s[26:27], s[20:21]
	s_cbranch_execz .LBB0_194
; %bb.189:                              ;   in Loop: Header=BB0_62 Depth=5
	s_waitcnt lgkmcnt(0)
	global_load_dwordx2 v[4:5], v8, s[94:95] offset:24 glc
	s_waitcnt vmcnt(0)
	buffer_wbinvl1_vol
	global_load_dwordx2 v[2:3], v8, s[94:95] offset:40
	global_load_dwordx2 v[6:7], v8, s[94:95]
	s_waitcnt vmcnt(1)
	v_and_b32_e32 v2, v2, v4
	v_and_b32_e32 v3, v3, v5
	v_mul_lo_u32 v3, v3, 24
	v_mul_hi_u32 v9, v2, 24
	v_mul_lo_u32 v2, v2, 24
	v_add_u32_e32 v3, v9, v3
	s_waitcnt vmcnt(0)
	v_add_co_u32_e32 v2, vcc, v6, v2
	v_addc_co_u32_e32 v3, vcc, v7, v3, vcc
	global_load_dwordx2 v[2:3], v[2:3], off glc
	s_waitcnt vmcnt(0)
	global_atomic_cmpswap_x2 v[6:7], v8, v[2:5], s[94:95] offset:24 glc
	s_waitcnt vmcnt(0)
	buffer_wbinvl1_vol
	v_cmp_ne_u64_e32 vcc, v[6:7], v[4:5]
	s_and_saveexec_b64 s[30:31], vcc
	s_cbranch_execz .LBB0_193
; %bb.190:                              ;   in Loop: Header=BB0_62 Depth=5
	s_mov_b64 s[34:35], 0
.LBB0_191:                              ;   Parent Loop BB0_3 Depth=1
                                        ;     Parent Loop BB0_6 Depth=2
                                        ;       Parent Loop BB0_11 Depth=3
                                        ;         Parent Loop BB0_37 Depth=4
                                        ;           Parent Loop BB0_62 Depth=5
                                        ; =>          This Inner Loop Header: Depth=6
	s_sleep 1
	global_load_dwordx2 v[2:3], v8, s[94:95] offset:40
	global_load_dwordx2 v[9:10], v8, s[94:95]
	v_mov_b32_e32 v4, v6
	v_mov_b32_e32 v5, v7
	s_waitcnt vmcnt(1)
	v_and_b32_e32 v2, v2, v4
	s_waitcnt vmcnt(0)
	v_mad_u64_u32 v[6:7], vcc, v2, 24, v[9:10]
	v_and_b32_e32 v3, v3, v5
	v_mov_b32_e32 v2, v7
	v_mad_u64_u32 v[2:3], vcc, v3, 24, v[2:3]
	v_mov_b32_e32 v7, v2
	global_load_dwordx2 v[2:3], v[6:7], off glc
	s_waitcnt vmcnt(0)
	global_atomic_cmpswap_x2 v[6:7], v8, v[2:5], s[94:95] offset:24 glc
	s_waitcnt vmcnt(0)
	buffer_wbinvl1_vol
	v_cmp_eq_u64_e32 vcc, v[6:7], v[4:5]
	s_or_b64 s[34:35], vcc, s[34:35]
	s_andn2_b64 exec, exec, s[34:35]
	s_cbranch_execnz .LBB0_191
; %bb.192:                              ;   in Loop: Header=BB0_62 Depth=5
	s_or_b64 exec, exec, s[34:35]
.LBB0_193:                              ;   in Loop: Header=BB0_62 Depth=5
	s_or_b64 exec, exec, s[30:31]
.LBB0_194:                              ;   in Loop: Header=BB0_62 Depth=5
	s_or_b64 exec, exec, s[26:27]
	s_waitcnt lgkmcnt(0)
	global_load_dwordx2 v[2:3], v8, s[94:95] offset:40
	global_load_dwordx4 v[24:27], v8, s[94:95]
	v_readfirstlane_b32 s31, v7
	v_readfirstlane_b32 s30, v6
	s_mov_b64 s[26:27], exec
	s_waitcnt vmcnt(1)
	v_readfirstlane_b32 vcc_lo, v2
	v_readfirstlane_b32 vcc_hi, v3
	s_and_b64 s[34:35], vcc, s[30:31]
	s_mul_i32 s25, s35, 24
	s_mul_hi_u32 vcc_lo, s34, 24
	s_mul_i32 vcc_hi, s34, 24
	s_add_i32 s25, vcc_lo, s25
	v_mov_b32_e32 v2, s25
	s_waitcnt vmcnt(0)
	v_add_co_u32_e32 v58, vcc, vcc_hi, v24
	v_addc_co_u32_e32 v59, vcc, v25, v2, vcc
	s_and_saveexec_b64 vcc, s[20:21]
	s_cbranch_execz .LBB0_196
; %bb.195:                              ;   in Loop: Header=BB0_62 Depth=5
	v_mov_b32_e32 v9, s26
	v_mov_b32_e32 v10, s27
	global_store_dwordx4 v[58:59], v[9:12], off offset:8
.LBB0_196:                              ;   in Loop: Header=BB0_62 Depth=5
	s_or_b64 exec, exec, vcc
	s_lshl_b64 s[26:27], s[34:35], 12
	v_mov_b32_e32 v2, s27
	v_add_co_u32_e32 v49, vcc, s26, v26
	v_addc_co_u32_e32 v2, vcc, v27, v2, vcc
	s_mov_b32 s25, s24
	s_mov_b32 s26, s24
	;; [unrolled: 1-line block ×3, first 2 shown]
	v_mov_b32_e32 v4, s24
	v_lshlrev_b32_e32 v3, 6, v60
	v_mov_b32_e32 v16, v8
	v_mov_b32_e32 v17, v8
	;; [unrolled: 1-line block ×3, first 2 shown]
	v_readfirstlane_b32 s34, v49
	v_readfirstlane_b32 s35, v2
	v_mov_b32_e32 v5, s25
	v_mov_b32_e32 v6, s26
	;; [unrolled: 1-line block ×3, first 2 shown]
	s_nop 1
	global_store_dwordx4 v3, v[16:19], s[34:35]
	global_store_dwordx4 v3, v[4:7], s[34:35] offset:16
	global_store_dwordx4 v3, v[4:7], s[34:35] offset:32
	;; [unrolled: 1-line block ×3, first 2 shown]
	s_and_saveexec_b64 s[26:27], s[20:21]
	s_cbranch_execz .LBB0_204
; %bb.197:                              ;   in Loop: Header=BB0_62 Depth=5
	global_load_dwordx2 v[34:35], v8, s[94:95] offset:32 glc
	global_load_dwordx2 v[4:5], v8, s[94:95] offset:40
	v_mov_b32_e32 v32, s30
	v_mov_b32_e32 v33, s31
	s_waitcnt vmcnt(0)
	v_and_b32_e32 v4, s30, v4
	v_and_b32_e32 v5, s31, v5
	v_mul_lo_u32 v5, v5, 24
	v_mul_hi_u32 v6, v4, 24
	v_mul_lo_u32 v4, v4, 24
	v_add_u32_e32 v5, v6, v5
	v_add_co_u32_e32 v6, vcc, v24, v4
	v_addc_co_u32_e32 v7, vcc, v25, v5, vcc
	global_store_dwordx2 v[6:7], v[34:35], off
	s_waitcnt vmcnt(0)
	global_atomic_cmpswap_x2 v[26:27], v8, v[32:35], s[94:95] offset:32 glc
	s_waitcnt vmcnt(0)
	v_cmp_ne_u64_e32 vcc, v[26:27], v[34:35]
	s_and_saveexec_b64 s[34:35], vcc
	s_cbranch_execz .LBB0_200
; %bb.198:                              ;   in Loop: Header=BB0_62 Depth=5
	s_mov_b64 s[36:37], 0
.LBB0_199:                              ;   Parent Loop BB0_3 Depth=1
                                        ;     Parent Loop BB0_6 Depth=2
                                        ;       Parent Loop BB0_11 Depth=3
                                        ;         Parent Loop BB0_37 Depth=4
                                        ;           Parent Loop BB0_62 Depth=5
                                        ; =>          This Inner Loop Header: Depth=6
	s_sleep 1
	global_store_dwordx2 v[6:7], v[26:27], off
	v_mov_b32_e32 v24, s30
	v_mov_b32_e32 v25, s31
	s_waitcnt vmcnt(0)
	global_atomic_cmpswap_x2 v[4:5], v8, v[24:27], s[94:95] offset:32 glc
	s_waitcnt vmcnt(0)
	v_cmp_eq_u64_e32 vcc, v[4:5], v[26:27]
	v_mov_b32_e32 v27, v5
	s_or_b64 s[36:37], vcc, s[36:37]
	v_mov_b32_e32 v26, v4
	s_andn2_b64 exec, exec, s[36:37]
	s_cbranch_execnz .LBB0_199
.LBB0_200:                              ;   in Loop: Header=BB0_62 Depth=5
	s_or_b64 exec, exec, s[34:35]
	global_load_dwordx2 v[9:10], v8, s[94:95] offset:16
	s_mov_b64 s[36:37], exec
	v_mbcnt_lo_u32_b32 v4, s36, 0
	v_mbcnt_hi_u32_b32 v4, s37, v4
	v_cmp_eq_u32_e32 vcc, 0, v4
	s_and_saveexec_b64 s[34:35], vcc
	s_cbranch_execz .LBB0_202
; %bb.201:                              ;   in Loop: Header=BB0_62 Depth=5
	s_bcnt1_i32_b64 s25, s[36:37]
	v_mov_b32_e32 v7, s25
	s_waitcnt vmcnt(0)
	global_atomic_add_x2 v[9:10], v[7:8], off offset:8
.LBB0_202:                              ;   in Loop: Header=BB0_62 Depth=5
	s_or_b64 exec, exec, s[34:35]
	s_waitcnt vmcnt(0)
	global_load_dwordx2 v[16:17], v[9:10], off offset:16
	s_waitcnt vmcnt(0)
	v_cmp_eq_u64_e32 vcc, 0, v[16:17]
	s_cbranch_vccnz .LBB0_204
; %bb.203:                              ;   in Loop: Header=BB0_62 Depth=5
	global_load_dword v7, v[9:10], off offset:24
	s_waitcnt vmcnt(0)
	v_readfirstlane_b32 s25, v7
	s_and_b32 m0, s25, 0xffffff
	global_store_dwordx2 v[16:17], v[7:8], off
	s_sendmsg sendmsg(MSG_INTERRUPT)
.LBB0_204:                              ;   in Loop: Header=BB0_62 Depth=5
	s_or_b64 exec, exec, s[26:27]
	v_add_co_u32_e32 v6, vcc, v49, v3
	v_addc_co_u32_e32 v7, vcc, 0, v2, vcc
.LBB0_205:                              ;   Parent Loop BB0_3 Depth=1
                                        ;     Parent Loop BB0_6 Depth=2
                                        ;       Parent Loop BB0_11 Depth=3
                                        ;         Parent Loop BB0_37 Depth=4
                                        ;           Parent Loop BB0_62 Depth=5
                                        ; =>          This Inner Loop Header: Depth=6
	v_mov_b32_e32 v2, 1
	s_and_saveexec_b64 s[26:27], s[20:21]
	s_cbranch_execz .LBB0_207
; %bb.206:                              ;   in Loop: Header=BB0_205 Depth=6
	global_load_dword v2, v[58:59], off offset:20 glc
	s_waitcnt vmcnt(0)
	buffer_wbinvl1_vol
	v_and_b32_e32 v2, 1, v2
.LBB0_207:                              ;   in Loop: Header=BB0_205 Depth=6
	s_or_b64 exec, exec, s[26:27]
	v_readfirstlane_b32 s25, v2
	s_cmp_eq_u32 s25, 0
	s_cbranch_scc1 .LBB0_209
; %bb.208:                              ;   in Loop: Header=BB0_205 Depth=6
	s_mov_b64 s[26:27], 0
	s_sleep 1
	s_branch .LBB0_210
.LBB0_209:                              ;   in Loop: Header=BB0_205 Depth=6
	s_mov_b64 s[26:27], -1
.LBB0_210:                              ;   in Loop: Header=BB0_205 Depth=6
	s_andn2_b64 vcc, exec, s[26:27]
	s_cbranch_vccnz .LBB0_205
; %bb.211:                              ;   in Loop: Header=BB0_62 Depth=5
	global_load_dwordx2 v[6:7], v[6:7], off
	s_and_saveexec_b64 s[26:27], s[20:21]
	s_cbranch_execz .LBB0_215
; %bb.212:                              ;   in Loop: Header=BB0_62 Depth=5
	global_load_dwordx2 v[2:3], v8, s[94:95] offset:40
	global_load_dwordx2 v[4:5], v8, s[94:95] offset:24 glc
	global_load_dwordx2 v[9:10], v8, s[94:95]
	s_waitcnt vmcnt(2)
	v_readfirstlane_b32 vcc_lo, v2
	v_readfirstlane_b32 vcc_hi, v3
	s_add_u32 s25, vcc_lo, 1
	s_addc_u32 s34, vcc_hi, 0
	s_add_u32 s20, s25, s30
	s_addc_u32 s21, s34, s31
	s_cmp_eq_u64 s[20:21], 0
	s_cselect_b32 s21, s34, s21
	s_cselect_b32 s20, s25, s20
	s_and_b64 vcc, s[20:21], vcc
	s_mul_i32 s25, vcc_hi, 24
	s_mul_hi_u32 vcc_hi, vcc_lo, 24
	s_mul_i32 vcc_lo, vcc_lo, 24
	s_add_i32 s25, vcc_hi, s25
	v_mov_b32_e32 v3, s25
	s_waitcnt vmcnt(0)
	v_add_co_u32_e32 v9, vcc, vcc_lo, v9
	v_addc_co_u32_e32 v10, vcc, v10, v3, vcc
	v_mov_b32_e32 v2, s20
	global_store_dwordx2 v[9:10], v[4:5], off
	v_mov_b32_e32 v3, s21
	s_waitcnt vmcnt(0)
	global_atomic_cmpswap_x2 v[26:27], v8, v[2:5], s[94:95] offset:24 glc
	s_waitcnt vmcnt(0)
	v_cmp_ne_u64_e32 vcc, v[26:27], v[4:5]
	s_and_b64 exec, exec, vcc
	s_cbranch_execz .LBB0_215
; %bb.213:                              ;   in Loop: Header=BB0_62 Depth=5
	s_mov_b64 s[30:31], 0
.LBB0_214:                              ;   Parent Loop BB0_3 Depth=1
                                        ;     Parent Loop BB0_6 Depth=2
                                        ;       Parent Loop BB0_11 Depth=3
                                        ;         Parent Loop BB0_37 Depth=4
                                        ;           Parent Loop BB0_62 Depth=5
                                        ; =>          This Inner Loop Header: Depth=6
	s_sleep 1
	global_store_dwordx2 v[9:10], v[26:27], off
	v_mov_b32_e32 v24, s20
	v_mov_b32_e32 v25, s21
	s_waitcnt vmcnt(0)
	global_atomic_cmpswap_x2 v[2:3], v8, v[24:27], s[94:95] offset:24 glc
	s_waitcnt vmcnt(0)
	v_cmp_eq_u64_e32 vcc, v[2:3], v[26:27]
	v_mov_b32_e32 v27, v3
	s_or_b64 s[30:31], vcc, s[30:31]
	v_mov_b32_e32 v26, v2
	s_andn2_b64 exec, exec, s[30:31]
	s_cbranch_execnz .LBB0_214
.LBB0_215:                              ;   in Loop: Header=BB0_62 Depth=5
	s_or_b64 exec, exec, s[26:27]
.LBB0_216:                              ;   in Loop: Header=BB0_62 Depth=5
	s_or_b64 exec, exec, s[92:93]
.LBB0_217:                              ;   in Loop: Header=BB0_62 Depth=5
	s_or_b64 exec, exec, s[22:23]
	s_waitcnt vmcnt(0)
	v_readfirstlane_b32 s22, v6
	v_readfirstlane_b32 s23, v7
	s_cmp_eq_u64 s[22:23], 0
	s_cbranch_scc1 .LBB0_288
; %bb.218:                              ;   in Loop: Header=BB0_62 Depth=5
	global_load_dword v9, v[54:55], off offset:56
	v_mbcnt_lo_u32_b32 v2, exec_lo, 0
	v_mbcnt_hi_u32_b32 v13, exec_hi, v2
	s_bcnt1_i32_b64 s25, exec
	s_waitcnt vmcnt(0)
	v_add_u32_e32 v2, 31, v9
	v_lshrrev_b32_e32 v10, 5, v2
	s_and_saveexec_b64 s[20:21], s[14:15]
	s_xor_b64 s[26:27], exec, s[20:21]
	s_cbranch_execz .LBB0_226
; %bb.219:                              ;   in Loop: Header=BB0_62 Depth=5
	global_load_dword v2, v[54:55], off offset:76
	v_cmp_lt_u32_e32 vcc, v13, v10
	s_and_saveexec_b64 s[92:93], vcc
	s_cbranch_execz .LBB0_222
; %bb.220:                              ;   in Loop: Header=BB0_62 Depth=5
	v_lshlrev_b32_e32 v3, 2, v13
	v_mov_b32_e32 v4, s23
	v_add_co_u32_e32 v3, vcc, s22, v3
	v_addc_co_u32_e32 v4, vcc, 0, v4, vcc
	v_add_co_u32_e32 v6, vcc, 16, v3
	v_addc_co_u32_e32 v7, vcc, 0, v4, vcc
	s_lshl_b32 s30, s25, 2
	s_mov_b64 s[94:95], 0
	v_mov_b32_e32 v3, v13
.LBB0_221:                              ;   Parent Loop BB0_3 Depth=1
                                        ;     Parent Loop BB0_6 Depth=2
                                        ;       Parent Loop BB0_11 Depth=3
                                        ;         Parent Loop BB0_37 Depth=4
                                        ;           Parent Loop BB0_62 Depth=5
                                        ; =>          This Inner Loop Header: Depth=6
	v_add_u32_e32 v3, s25, v3
	global_store_dword v[6:7], v8, off
	v_add_co_u32_e32 v6, vcc, s30, v6
	v_cmp_ge_u32_e64 s[20:21], v3, v10
	s_or_b64 s[94:95], s[20:21], s[94:95]
	v_addc_co_u32_e32 v7, vcc, 0, v7, vcc
	s_andn2_b64 exec, exec, s[94:95]
	s_cbranch_execnz .LBB0_221
.LBB0_222:                              ;   in Loop: Header=BB0_62 Depth=5
	s_or_b64 exec, exec, s[92:93]
	global_load_dword v3, v[54:55], off offset:72
	s_waitcnt vmcnt(0)
	v_mad_u64_u32 v[6:7], s[20:21], v2, v13, v[3:4]
	v_cmp_lt_u32_e32 vcc, v6, v9
	s_and_saveexec_b64 s[20:21], vcc
	s_cbranch_execz .LBB0_225
; %bb.223:                              ;   in Loop: Header=BB0_62 Depth=5
	v_mul_lo_u32 v2, v2, s25
	s_mov_b64 s[92:93], 0
.LBB0_224:                              ;   Parent Loop BB0_3 Depth=1
                                        ;     Parent Loop BB0_6 Depth=2
                                        ;       Parent Loop BB0_11 Depth=3
                                        ;         Parent Loop BB0_37 Depth=4
                                        ;           Parent Loop BB0_62 Depth=5
                                        ; =>          This Inner Loop Header: Depth=6
	v_lshlrev_b32_e64 v3, v6, 1
	v_lshrrev_b32_e32 v4, 3, v6
	v_add_u32_e32 v6, v6, v2
	v_cmp_ge_u32_e32 vcc, v6, v9
	v_and_b32_e32 v4, 0x1ffffffc, v4
	s_or_b64 s[92:93], vcc, s[92:93]
	global_store_dword v4, v3, s[22:23] offset:16
	s_andn2_b64 exec, exec, s[92:93]
	s_cbranch_execnz .LBB0_224
.LBB0_225:                              ;   in Loop: Header=BB0_62 Depth=5
	s_or_b64 exec, exec, s[20:21]
.LBB0_226:                              ;   in Loop: Header=BB0_62 Depth=5
	s_andn2_saveexec_b64 s[26:27], s[26:27]
	s_cbranch_execz .LBB0_231
; %bb.227:                              ;   in Loop: Header=BB0_62 Depth=5
	v_cmp_lt_u32_e32 vcc, v13, v10
	s_and_saveexec_b64 s[92:93], vcc
	s_cbranch_execz .LBB0_230
; %bb.228:                              ;   in Loop: Header=BB0_62 Depth=5
	global_load_dword v2, v[54:55], off offset:80
	v_lshlrev_b32_e32 v3, 2, v13
	v_mov_b32_e32 v4, s23
	v_add_co_u32_e32 v3, vcc, s22, v3
	v_addc_co_u32_e32 v4, vcc, 0, v4, vcc
	v_add_co_u32_e32 v6, vcc, 16, v3
	v_addc_co_u32_e32 v7, vcc, 0, v4, vcc
	s_lshl_b32 s30, s25, 2
	s_mov_b64 s[94:95], 0
	v_mov_b32_e32 v3, v13
	s_waitcnt vmcnt(0)
.LBB0_229:                              ;   Parent Loop BB0_3 Depth=1
                                        ;     Parent Loop BB0_6 Depth=2
                                        ;       Parent Loop BB0_11 Depth=3
                                        ;         Parent Loop BB0_37 Depth=4
                                        ;           Parent Loop BB0_62 Depth=5
                                        ; =>          This Inner Loop Header: Depth=6
	v_add_u32_e32 v3, s25, v3
	global_store_dword v[6:7], v2, off
	v_add_co_u32_e32 v6, vcc, s30, v6
	v_cmp_ge_u32_e64 s[20:21], v3, v10
	s_or_b64 s[94:95], s[20:21], s[94:95]
	v_addc_co_u32_e32 v7, vcc, 0, v7, vcc
	s_andn2_b64 exec, exec, s[94:95]
	s_cbranch_execnz .LBB0_229
.LBB0_230:                              ;   in Loop: Header=BB0_62 Depth=5
	s_or_b64 exec, exec, s[92:93]
.LBB0_231:                              ;   in Loop: Header=BB0_62 Depth=5
	s_or_b64 exec, exec, s[26:27]
	v_cmp_eq_u32_e32 vcc, 0, v13
	s_and_saveexec_b64 s[20:21], vcc
	s_cbranch_execz .LBB0_235
; %bb.232:                              ;   in Loop: Header=BB0_62 Depth=5
	s_and_saveexec_b64 s[26:27], s[16:17]
	s_cbranch_execz .LBB0_234
; %bb.233:                              ;   in Loop: Header=BB0_62 Depth=5
	v_add_u32_e32 v7, -1, v10
	v_lshlrev_b64 v[2:3], 2, v[7:8]
	v_mov_b32_e32 v4, s23
	v_add_co_u32_e32 v2, vcc, s22, v2
	v_addc_co_u32_e32 v3, vcc, v4, v3, vcc
	global_load_dword v4, v[2:3], off offset:16
	s_waitcnt vmcnt(0)
	v_lshl_or_b32 v4, -1, v9, v4
	global_store_dword v[2:3], v4, off offset:16
.LBB0_234:                              ;   in Loop: Header=BB0_62 Depth=5
	s_or_b64 exec, exec, s[26:27]
	global_store_dwordx4 v8, v[20:23], s[22:23]
.LBB0_235:                              ;   in Loop: Header=BB0_62 Depth=5
	s_or_b64 exec, exec, s[20:21]
.LBB0_236:                              ;   Parent Loop BB0_3 Depth=1
                                        ;     Parent Loop BB0_6 Depth=2
                                        ;       Parent Loop BB0_11 Depth=3
                                        ;         Parent Loop BB0_37 Depth=4
                                        ;           Parent Loop BB0_62 Depth=5
                                        ; =>          This Inner Loop Header: Depth=6
	v_mov_b32_e32 v2, s71
	s_and_saveexec_b64 s[20:21], s[18:19]
	s_cbranch_execz .LBB0_238
; %bb.237:                              ;   in Loop: Header=BB0_236 Depth=6
	global_load_dword v2, v[52:53], off offset:2304 glc
.LBB0_238:                              ;   in Loop: Header=BB0_236 Depth=6
	s_or_b64 exec, exec, s[20:21]
	s_waitcnt vmcnt(0)
	v_readfirstlane_b32 s71, v2
	s_cmp_eq_u32 s71, 0x10100
	s_cbranch_scc1 .LBB0_252
; %bb.239:                              ;   in Loop: Header=BB0_236 Depth=6
	v_mov_b32_e32 v2, s80
	s_and_saveexec_b64 s[20:21], s[18:19]
	s_cbranch_execz .LBB0_241
; %bb.240:                              ;   in Loop: Header=BB0_236 Depth=6
	global_load_dword v2, v[42:43], off glc
.LBB0_241:                              ;   in Loop: Header=BB0_236 Depth=6
	s_or_b64 exec, exec, s[20:21]
	s_waitcnt vmcnt(0)
	v_readfirstlane_b32 s80, v2
	s_mov_b64 s[26:27], -1
	s_cmp_lg_u32 s71, s80
	s_mov_b64 s[92:93], -1
                                        ; implicit-def: $sgpr20_sgpr21
	s_cbranch_scc0 .LBB0_251
; %bb.242:                              ;   in Loop: Header=BB0_236 Depth=6
	v_mov_b32_e32 v2, 0
	v_mov_b32_e32 v3, 0
	s_and_saveexec_b64 s[20:21], s[18:19]
	s_cbranch_execz .LBB0_248
; %bb.243:                              ;   in Loop: Header=BB0_236 Depth=6
	v_mov_b32_e32 v6, v40
	s_cmpk_lt_u32 s71, 0x100
	s_mov_b32 s25, s71
	v_mov_b32_e32 v7, v41
	s_cbranch_scc1 .LBB0_245
; %bb.244:                              ;   in Loop: Header=BB0_236 Depth=6
	s_add_i32 s25, s71, 0xffffff00
	s_lshr_b32 s25, s25, 8
	v_mad_u64_u32 v[2:3], s[26:27], s25, 24, v[40:41]
	s_and_b32 s25, s71, 0xff
	global_load_dwordx2 v[6:7], v[2:3], off glc
.LBB0_245:                              ;   in Loop: Header=BB0_236 Depth=6
	s_waitcnt vmcnt(0)
	v_mad_u64_u32 v[13:14], s[26:27], s25, 24, v[6:7]
	v_mov_b32_e32 v2, s71
	global_store_dword v8, v2, s[22:23] offset:4
	v_mov_b32_e32 v6, s22
	v_mov_b32_e32 v7, s23
	;; [unrolled: 1-line block ×3, first 2 shown]
	global_atomic_cmpswap_x2 v[2:3], v[13:14], v[6:9], off offset:8 glc
	s_waitcnt vmcnt(0)
	v_cmp_eq_u64_e32 vcc, 0, v[2:3]
	v_mov_b32_e32 v2, 0
	v_mov_b32_e32 v3, 0
	s_and_saveexec_b64 s[26:27], vcc
	s_cbranch_execz .LBB0_247
; %bb.246:                              ;   in Loop: Header=BB0_236 Depth=6
	global_atomic_add v[52:53], v12, off offset:2304
	v_mov_b32_e32 v2, v14
	v_mov_b32_e32 v3, v13
.LBB0_247:                              ;   in Loop: Header=BB0_236 Depth=6
	s_or_b64 exec, exec, s[26:27]
.LBB0_248:                              ;   in Loop: Header=BB0_236 Depth=6
	s_or_b64 exec, exec, s[20:21]
	v_readfirstlane_b32 s20, v3
	v_readfirstlane_b32 s21, v2
	s_cmp_lg_u64 s[20:21], 0
	s_cbranch_scc1 .LBB0_250
; %bb.249:                              ;   in Loop: Header=BB0_236 Depth=6
	s_mov_b64 s[92:93], 0
	s_sleep 2
.LBB0_250:                              ;   in Loop: Header=BB0_236 Depth=6
	s_mov_b64 s[26:27], 0
.LBB0_251:                              ;   in Loop: Header=BB0_236 Depth=6
	s_mov_b64 s[94:95], 0
	s_branch .LBB0_253
.LBB0_252:                              ;   in Loop: Header=BB0_236 Depth=6
	s_mov_b64 s[94:95], -1
	s_mov_b64 s[26:27], 0
                                        ; implicit-def: $sgpr80
                                        ; implicit-def: $sgpr20_sgpr21
	s_mov_b64 s[92:93], -1
.LBB0_253:                              ;   in Loop: Header=BB0_236 Depth=6
	s_and_b64 vcc, exec, s[92:93]
	s_cbranch_vccz .LBB0_236
; %bb.254:                              ;   in Loop: Header=BB0_62 Depth=5
	s_and_b64 vcc, exec, s[94:95]
	s_cbranch_vccnz .LBB0_287
; %bb.255:                              ;   in Loop: Header=BB0_62 Depth=5
	s_xor_b64 s[26:27], s[26:27], -1
	s_mov_b64 s[92:93], -1
	s_and_b64 vcc, exec, s[26:27]
	s_cbranch_vccz .LBB0_257
; %bb.256:                              ;   in Loop: Header=BB0_62 Depth=5
	s_mov_b64 s[92:93], 0
.LBB0_257:                              ;   in Loop: Header=BB0_62 Depth=5
	v_mov_b32_e32 v13, s20
	s_mov_b64 s[26:27], 0
	s_andn2_b64 vcc, exec, s[92:93]
	v_mov_b32_e32 v14, s21
	s_cbranch_vccnz .LBB0_289
; %bb.258:                              ;   in Loop: Header=BB0_62 Depth=5
	s_and_saveexec_b64 s[92:93], s[18:19]
	s_cbranch_execz .LBB0_286
; %bb.259:                              ;   in Loop: Header=BB0_62 Depth=5
	s_load_dwordx2 s[94:95], s[8:9], 0x50
	v_readfirstlane_b32 s20, v60
	v_mov_b32_e32 v6, 0
	v_mov_b32_e32 v7, 0
	v_cmp_eq_u32_e64 s[20:21], s20, v60
	s_and_saveexec_b64 s[26:27], s[20:21]
	s_cbranch_execz .LBB0_265
; %bb.260:                              ;   in Loop: Header=BB0_62 Depth=5
	s_waitcnt lgkmcnt(0)
	global_load_dwordx2 v[4:5], v8, s[94:95] offset:24 glc
	s_waitcnt vmcnt(0)
	buffer_wbinvl1_vol
	global_load_dwordx2 v[2:3], v8, s[94:95] offset:40
	global_load_dwordx2 v[6:7], v8, s[94:95]
	s_waitcnt vmcnt(1)
	v_and_b32_e32 v2, v2, v4
	v_and_b32_e32 v3, v3, v5
	v_mul_lo_u32 v3, v3, 24
	v_mul_hi_u32 v9, v2, 24
	v_mul_lo_u32 v2, v2, 24
	v_add_u32_e32 v3, v9, v3
	s_waitcnt vmcnt(0)
	v_add_co_u32_e32 v2, vcc, v6, v2
	v_addc_co_u32_e32 v3, vcc, v7, v3, vcc
	global_load_dwordx2 v[2:3], v[2:3], off glc
	s_waitcnt vmcnt(0)
	global_atomic_cmpswap_x2 v[6:7], v8, v[2:5], s[94:95] offset:24 glc
	s_waitcnt vmcnt(0)
	buffer_wbinvl1_vol
	v_cmp_ne_u64_e32 vcc, v[6:7], v[4:5]
	s_and_saveexec_b64 s[30:31], vcc
	s_cbranch_execz .LBB0_264
; %bb.261:                              ;   in Loop: Header=BB0_62 Depth=5
	s_mov_b64 s[34:35], 0
.LBB0_262:                              ;   Parent Loop BB0_3 Depth=1
                                        ;     Parent Loop BB0_6 Depth=2
                                        ;       Parent Loop BB0_11 Depth=3
                                        ;         Parent Loop BB0_37 Depth=4
                                        ;           Parent Loop BB0_62 Depth=5
                                        ; =>          This Inner Loop Header: Depth=6
	s_sleep 1
	global_load_dwordx2 v[2:3], v8, s[94:95] offset:40
	global_load_dwordx2 v[9:10], v8, s[94:95]
	v_mov_b32_e32 v4, v6
	v_mov_b32_e32 v5, v7
	s_waitcnt vmcnt(1)
	v_and_b32_e32 v2, v2, v4
	s_waitcnt vmcnt(0)
	v_mad_u64_u32 v[6:7], vcc, v2, 24, v[9:10]
	v_and_b32_e32 v3, v3, v5
	v_mov_b32_e32 v2, v7
	v_mad_u64_u32 v[2:3], vcc, v3, 24, v[2:3]
	v_mov_b32_e32 v7, v2
	global_load_dwordx2 v[2:3], v[6:7], off glc
	s_waitcnt vmcnt(0)
	global_atomic_cmpswap_x2 v[6:7], v8, v[2:5], s[94:95] offset:24 glc
	s_waitcnt vmcnt(0)
	buffer_wbinvl1_vol
	v_cmp_eq_u64_e32 vcc, v[6:7], v[4:5]
	s_or_b64 s[34:35], vcc, s[34:35]
	s_andn2_b64 exec, exec, s[34:35]
	s_cbranch_execnz .LBB0_262
; %bb.263:                              ;   in Loop: Header=BB0_62 Depth=5
	s_or_b64 exec, exec, s[34:35]
.LBB0_264:                              ;   in Loop: Header=BB0_62 Depth=5
	s_or_b64 exec, exec, s[30:31]
.LBB0_265:                              ;   in Loop: Header=BB0_62 Depth=5
	s_or_b64 exec, exec, s[26:27]
	s_waitcnt lgkmcnt(0)
	global_load_dwordx2 v[2:3], v8, s[94:95] offset:40
	global_load_dwordx4 v[24:27], v8, s[94:95]
	v_readfirstlane_b32 s31, v7
	v_readfirstlane_b32 s30, v6
	s_mov_b64 s[26:27], exec
	s_waitcnt vmcnt(1)
	v_readfirstlane_b32 vcc_lo, v2
	v_readfirstlane_b32 vcc_hi, v3
	s_and_b64 s[34:35], vcc, s[30:31]
	s_mul_i32 s25, s35, 24
	s_mul_hi_u32 vcc_lo, s34, 24
	s_mul_i32 vcc_hi, s34, 24
	s_add_i32 s25, vcc_lo, s25
	v_mov_b32_e32 v2, s25
	s_waitcnt vmcnt(0)
	v_add_co_u32_e32 v13, vcc, vcc_hi, v24
	v_addc_co_u32_e32 v14, vcc, v25, v2, vcc
	s_and_saveexec_b64 vcc, s[20:21]
	s_cbranch_execz .LBB0_267
; %bb.266:                              ;   in Loop: Header=BB0_62 Depth=5
	v_mov_b32_e32 v9, s26
	v_mov_b32_e32 v10, s27
	global_store_dwordx4 v[13:14], v[9:12], off offset:8
.LBB0_267:                              ;   in Loop: Header=BB0_62 Depth=5
	s_or_b64 exec, exec, vcc
	s_lshl_b64 s[26:27], s[34:35], 12
	v_mov_b32_e32 v2, s27
	v_add_co_u32_e32 v4, vcc, s26, v26
	v_addc_co_u32_e32 v5, vcc, v27, v2, vcc
	v_mov_b32_e32 v2, s22
	v_lshlrev_b32_e32 v6, 6, v60
	v_mov_b32_e32 v3, s23
	v_readfirstlane_b32 s22, v4
	v_readfirstlane_b32 s23, v5
	s_mov_b32 s25, s24
	s_mov_b32 s26, s24
	;; [unrolled: 1-line block ×3, first 2 shown]
	v_mov_b32_e32 v9, v8
	s_nop 0
	global_store_dwordx2 v6, v[2:3], s[22:23]
	v_mov_b32_e32 v2, s24
	v_mov_b32_e32 v3, s25
	;; [unrolled: 1-line block ×4, first 2 shown]
	global_store_dwordx4 v6, v[2:5], s[22:23] offset:8
	global_store_dwordx4 v6, v[2:5], s[22:23] offset:24
	;; [unrolled: 1-line block ×3, first 2 shown]
	global_store_dwordx2 v6, v[8:9], s[22:23] offset:56
	s_and_saveexec_b64 s[22:23], s[20:21]
	s_cbranch_execz .LBB0_275
; %bb.268:                              ;   in Loop: Header=BB0_62 Depth=5
	global_load_dwordx2 v[4:5], v8, s[94:95] offset:32 glc
	global_load_dwordx2 v[2:3], v8, s[94:95] offset:40
	s_waitcnt vmcnt(0)
	v_and_b32_e32 v2, s30, v2
	v_and_b32_e32 v3, s31, v3
	v_mul_lo_u32 v3, v3, 24
	v_mul_hi_u32 v6, v2, 24
	v_mul_lo_u32 v7, v2, 24
	v_mov_b32_e32 v2, s30
	v_add_u32_e32 v3, v6, v3
	v_add_co_u32_e32 v6, vcc, v24, v7
	v_addc_co_u32_e32 v7, vcc, v25, v3, vcc
	global_store_dwordx2 v[6:7], v[4:5], off
	v_mov_b32_e32 v3, s31
	s_waitcnt vmcnt(0)
	global_atomic_cmpswap_x2 v[26:27], v8, v[2:5], s[94:95] offset:32 glc
	s_waitcnt vmcnt(0)
	v_cmp_ne_u64_e32 vcc, v[26:27], v[4:5]
	s_and_saveexec_b64 s[26:27], vcc
	s_cbranch_execz .LBB0_271
; %bb.269:                              ;   in Loop: Header=BB0_62 Depth=5
	s_mov_b64 s[34:35], 0
.LBB0_270:                              ;   Parent Loop BB0_3 Depth=1
                                        ;     Parent Loop BB0_6 Depth=2
                                        ;       Parent Loop BB0_11 Depth=3
                                        ;         Parent Loop BB0_37 Depth=4
                                        ;           Parent Loop BB0_62 Depth=5
                                        ; =>          This Inner Loop Header: Depth=6
	s_sleep 1
	global_store_dwordx2 v[6:7], v[26:27], off
	v_mov_b32_e32 v24, s30
	v_mov_b32_e32 v25, s31
	s_waitcnt vmcnt(0)
	global_atomic_cmpswap_x2 v[2:3], v8, v[24:27], s[94:95] offset:32 glc
	s_waitcnt vmcnt(0)
	v_cmp_eq_u64_e32 vcc, v[2:3], v[26:27]
	v_mov_b32_e32 v27, v3
	s_or_b64 s[34:35], vcc, s[34:35]
	v_mov_b32_e32 v26, v2
	s_andn2_b64 exec, exec, s[34:35]
	s_cbranch_execnz .LBB0_270
.LBB0_271:                              ;   in Loop: Header=BB0_62 Depth=5
	s_or_b64 exec, exec, s[26:27]
	global_load_dwordx2 v[9:10], v8, s[94:95] offset:16
	s_mov_b64 s[34:35], exec
	v_mbcnt_lo_u32_b32 v2, s34, 0
	v_mbcnt_hi_u32_b32 v2, s35, v2
	v_cmp_eq_u32_e32 vcc, 0, v2
	s_and_saveexec_b64 s[26:27], vcc
	s_cbranch_execz .LBB0_273
; %bb.272:                              ;   in Loop: Header=BB0_62 Depth=5
	s_bcnt1_i32_b64 s25, s[34:35]
	v_mov_b32_e32 v7, s25
	s_waitcnt vmcnt(0)
	global_atomic_add_x2 v[9:10], v[7:8], off offset:8
.LBB0_273:                              ;   in Loop: Header=BB0_62 Depth=5
	s_or_b64 exec, exec, s[26:27]
	s_waitcnt vmcnt(0)
	global_load_dwordx2 v[16:17], v[9:10], off offset:16
	s_waitcnt vmcnt(0)
	v_cmp_eq_u64_e32 vcc, 0, v[16:17]
	s_cbranch_vccnz .LBB0_275
; %bb.274:                              ;   in Loop: Header=BB0_62 Depth=5
	global_load_dword v7, v[9:10], off offset:24
	s_waitcnt vmcnt(0)
	v_readfirstlane_b32 s25, v7
	s_and_b32 m0, s25, 0xffffff
	global_store_dwordx2 v[16:17], v[7:8], off
	s_sendmsg sendmsg(MSG_INTERRUPT)
.LBB0_275:                              ;   in Loop: Header=BB0_62 Depth=5
	s_or_b64 exec, exec, s[22:23]
.LBB0_276:                              ;   Parent Loop BB0_3 Depth=1
                                        ;     Parent Loop BB0_6 Depth=2
                                        ;       Parent Loop BB0_11 Depth=3
                                        ;         Parent Loop BB0_37 Depth=4
                                        ;           Parent Loop BB0_62 Depth=5
                                        ; =>          This Inner Loop Header: Depth=6
	v_mov_b32_e32 v2, 1
	s_and_saveexec_b64 s[22:23], s[20:21]
	s_cbranch_execz .LBB0_278
; %bb.277:                              ;   in Loop: Header=BB0_276 Depth=6
	global_load_dword v2, v[13:14], off offset:20 glc
	s_waitcnt vmcnt(0)
	buffer_wbinvl1_vol
	v_and_b32_e32 v2, 1, v2
.LBB0_278:                              ;   in Loop: Header=BB0_276 Depth=6
	s_or_b64 exec, exec, s[22:23]
	v_readfirstlane_b32 s22, v2
	s_cmp_eq_u32 s22, 0
	s_cbranch_scc1 .LBB0_280
; %bb.279:                              ;   in Loop: Header=BB0_276 Depth=6
	s_mov_b64 s[22:23], 0
	s_sleep 1
	s_branch .LBB0_281
.LBB0_280:                              ;   in Loop: Header=BB0_276 Depth=6
	s_mov_b64 s[22:23], -1
.LBB0_281:                              ;   in Loop: Header=BB0_276 Depth=6
	s_andn2_b64 vcc, exec, s[22:23]
	s_cbranch_vccnz .LBB0_276
; %bb.282:                              ;   in Loop: Header=BB0_62 Depth=5
	s_and_b64 exec, exec, s[20:21]
	s_cbranch_execz .LBB0_286
; %bb.283:                              ;   in Loop: Header=BB0_62 Depth=5
	global_load_dwordx2 v[2:3], v8, s[94:95] offset:40
	global_load_dwordx2 v[4:5], v8, s[94:95] offset:24 glc
	global_load_dwordx2 v[6:7], v8, s[94:95]
	s_waitcnt vmcnt(2)
	v_readfirstlane_b32 s22, v2
	v_readfirstlane_b32 s23, v3
	s_add_u32 s25, s22, 1
	s_addc_u32 s26, s23, 0
	s_add_u32 s20, s25, s30
	s_addc_u32 s21, s26, s31
	s_cmp_eq_u64 s[20:21], 0
	s_cselect_b32 s21, s26, s21
	s_cselect_b32 s20, s25, s20
	s_and_b64 s[22:23], s[20:21], s[22:23]
	s_mul_i32 s23, s23, 24
	s_mul_hi_u32 s25, s22, 24
	s_mul_i32 s22, s22, 24
	s_add_i32 s23, s25, s23
	v_mov_b32_e32 v3, s23
	s_waitcnt vmcnt(0)
	v_add_co_u32_e32 v6, vcc, s22, v6
	v_addc_co_u32_e32 v7, vcc, v7, v3, vcc
	v_mov_b32_e32 v2, s20
	global_store_dwordx2 v[6:7], v[4:5], off
	v_mov_b32_e32 v3, s21
	s_waitcnt vmcnt(0)
	global_atomic_cmpswap_x2 v[26:27], v8, v[2:5], s[94:95] offset:24 glc
	s_waitcnt vmcnt(0)
	v_cmp_ne_u64_e32 vcc, v[26:27], v[4:5]
	s_and_b64 exec, exec, vcc
	s_cbranch_execz .LBB0_286
; %bb.284:                              ;   in Loop: Header=BB0_62 Depth=5
	s_mov_b64 s[22:23], 0
.LBB0_285:                              ;   Parent Loop BB0_3 Depth=1
                                        ;     Parent Loop BB0_6 Depth=2
                                        ;       Parent Loop BB0_11 Depth=3
                                        ;         Parent Loop BB0_37 Depth=4
                                        ;           Parent Loop BB0_62 Depth=5
                                        ; =>          This Inner Loop Header: Depth=6
	s_sleep 1
	global_store_dwordx2 v[6:7], v[26:27], off
	v_mov_b32_e32 v24, s20
	v_mov_b32_e32 v25, s21
	s_waitcnt vmcnt(0)
	global_atomic_cmpswap_x2 v[2:3], v8, v[24:27], s[94:95] offset:24 glc
	s_waitcnt vmcnt(0)
	v_cmp_eq_u64_e32 vcc, v[2:3], v[26:27]
	v_mov_b32_e32 v27, v3
	s_or_b64 s[22:23], vcc, s[22:23]
	v_mov_b32_e32 v26, v2
	s_andn2_b64 exec, exec, s[22:23]
	s_cbranch_execnz .LBB0_285
.LBB0_286:                              ;   in Loop: Header=BB0_62 Depth=5
	s_or_b64 exec, exec, s[92:93]
	v_mov_b32_e32 v13, v56
	s_mov_b64 s[26:27], -1
	v_mov_b32_e32 v14, v57
	s_branch .LBB0_289
.LBB0_287:                              ;   in Loop: Header=BB0_62 Depth=5
	v_mov_b32_e32 v13, 0
	v_mov_b32_e32 v14, 0
.LBB0_288:                              ;   in Loop: Header=BB0_62 Depth=5
	s_mov_b64 s[26:27], 0
.LBB0_289:                              ;   in Loop: Header=BB0_62 Depth=5
	v_mov_b32_e32 v57, v14
	v_mov_b32_e32 v56, v13
.LBB0_290:                              ;   in Loop: Header=BB0_62 Depth=5
	s_xor_b64 s[20:21], s[26:27], -1
	s_andn2_b64 vcc, exec, s[20:21]
	s_cbranch_vccnz .LBB0_62
; %bb.291:                              ;   in Loop: Header=BB0_37 Depth=4
	v_cmp_ne_u64_e64 s[18:19], 1, v[56:57]
	s_and_b64 vcc, exec, s[18:19]
	s_cbranch_vccz .LBB0_294
; %bb.292:                              ;   in Loop: Header=BB0_37 Depth=4
	v_mov_b32_e32 v50, v56
	v_mov_b32_e32 v51, v57
	s_branch .LBB0_314
.LBB0_293:                              ;   in Loop: Header=BB0_37 Depth=4
                                        ; implicit-def: $sgpr70
	s_branch .LBB0_314
.LBB0_294:                              ;   in Loop: Header=BB0_37 Depth=4
	v_mbcnt_lo_u32_b32 v2, exec_lo, 0
	v_mbcnt_hi_u32_b32 v2, exec_hi, v2
	v_cmp_eq_u32_e32 vcc, 0, v2
	s_and_saveexec_b64 s[20:21], vcc
	s_cbranch_execz .LBB0_311
; %bb.295:                              ;   in Loop: Header=BB0_37 Depth=4
	global_load_dwordx2 v[2:3], v[46:47], off glc
	s_memrealtime s[22:23]
	s_waitcnt lgkmcnt(0)
	v_mov_b32_e32 v4, s23
	s_waitcnt vmcnt(0)
	v_sub_co_u32_e32 v6, vcc, s22, v2
	v_subb_co_u32_e32 v7, vcc, v4, v3, vcc
	v_cmp_gt_u64_e32 vcc, s[72:73], v[6:7]
	s_and_b64 exec, exec, vcc
	s_cbranch_execz .LBB0_311
; %bb.296:                              ;   in Loop: Header=BB0_37 Depth=4
	s_memrealtime s[26:27]
	v_readfirstlane_b32 s22, v6
	s_sub_i32 s22, 0x4e20, s22
	s_waitcnt lgkmcnt(0)
	s_add_u32 s22, s22, s26
	s_addc_u32 s23, 0, s27
	s_add_u32 s92, s26, 0x659
	s_addc_u32 s93, 0, s27
.LBB0_297:                              ;   Parent Loop BB0_3 Depth=1
                                        ;     Parent Loop BB0_6 Depth=2
                                        ;       Parent Loop BB0_11 Depth=3
                                        ;         Parent Loop BB0_37 Depth=4
                                        ; =>        This Inner Loop Header: Depth=5
	v_mov_b32_e32 v2, s92
	v_mov_b32_e32 v3, s93
	v_cmp_le_u64_e32 vcc, s[22:23], v[2:3]
	s_cbranch_vccnz .LBB0_300
; %bb.298:                              ;   in Loop: Header=BB0_297 Depth=5
	s_sleep 0x7f
	s_memrealtime s[26:27]
	s_waitcnt lgkmcnt(0)
	s_add_u32 s92, s26, 0x659
	s_addc_u32 s93, s27, 0
	s_branch .LBB0_297
.LBB0_299:                              ;   in Loop: Header=BB0_300 Depth=5
	s_sleep 63
	s_memrealtime s[26:27]
.LBB0_300:                              ;   Parent Loop BB0_3 Depth=1
                                        ;     Parent Loop BB0_6 Depth=2
                                        ;       Parent Loop BB0_11 Depth=3
                                        ;         Parent Loop BB0_37 Depth=4
                                        ; =>        This Inner Loop Header: Depth=5
	s_waitcnt lgkmcnt(0)
	s_add_u32 s92, s26, 0x326
	s_addc_u32 s93, s27, 0
	v_mov_b32_e32 v2, s92
	v_mov_b32_e32 v3, s93
	v_cmp_le_u64_e32 vcc, s[22:23], v[2:3]
	s_cbranch_vccz .LBB0_299
; %bb.301:                              ;   in Loop: Header=BB0_37 Depth=4
	s_add_u32 s92, s26, 0x18c
	s_addc_u32 s93, s27, 0
	v_mov_b32_e32 v2, s92
	v_mov_b32_e32 v3, s93
	v_cmp_le_u64_e32 vcc, s[22:23], v[2:3]
	s_cbranch_vccnz .LBB0_304
.LBB0_302:                              ;   Parent Loop BB0_3 Depth=1
                                        ;     Parent Loop BB0_6 Depth=2
                                        ;       Parent Loop BB0_11 Depth=3
                                        ;         Parent Loop BB0_37 Depth=4
                                        ; =>        This Inner Loop Header: Depth=5
	s_sleep 31
	s_memrealtime s[26:27]
	s_waitcnt lgkmcnt(0)
	s_add_u32 s92, s26, 0x18c
	s_addc_u32 s93, s27, 0
	v_mov_b32_e32 v2, s92
	v_mov_b32_e32 v3, s93
	v_cmp_gt_u64_e32 vcc, s[22:23], v[2:3]
	s_cbranch_vccnz .LBB0_302
	s_branch .LBB0_304
.LBB0_303:                              ;   in Loop: Header=BB0_304 Depth=5
	s_sleep 15
	s_memrealtime s[26:27]
.LBB0_304:                              ;   Parent Loop BB0_3 Depth=1
                                        ;     Parent Loop BB0_6 Depth=2
                                        ;       Parent Loop BB0_11 Depth=3
                                        ;         Parent Loop BB0_37 Depth=4
                                        ; =>        This Inner Loop Header: Depth=5
	s_waitcnt lgkmcnt(0)
	s_add_u32 s92, s26, 0xc0
	s_addc_u32 s93, s27, 0
	v_mov_b32_e32 v2, s92
	v_mov_b32_e32 v3, s93
	v_cmp_le_u64_e32 vcc, s[22:23], v[2:3]
	s_cbranch_vccz .LBB0_303
	s_branch .LBB0_306
.LBB0_305:                              ;   in Loop: Header=BB0_306 Depth=5
	s_sleep 7
	s_memrealtime s[26:27]
.LBB0_306:                              ;   Parent Loop BB0_3 Depth=1
                                        ;     Parent Loop BB0_6 Depth=2
                                        ;       Parent Loop BB0_11 Depth=3
                                        ;         Parent Loop BB0_37 Depth=4
                                        ; =>        This Inner Loop Header: Depth=5
	s_waitcnt lgkmcnt(0)
	s_add_u32 s92, s26, 0x59
	s_addc_u32 s93, s27, 0
	v_mov_b32_e32 v2, s92
	v_mov_b32_e32 v3, s93
	v_cmp_le_u64_e32 vcc, s[22:23], v[2:3]
	s_cbranch_vccz .LBB0_305
	;; [unrolled: 16-line block ×3, first 2 shown]
; %bb.309:                              ;   in Loop: Header=BB0_37 Depth=4
	v_mov_b32_e32 v2, s26
	v_mov_b32_e32 v3, s27
	v_cmp_le_u64_e32 vcc, s[22:23], v[2:3]
	s_cbranch_vccnz .LBB0_311
.LBB0_310:                              ;   Parent Loop BB0_3 Depth=1
                                        ;     Parent Loop BB0_6 Depth=2
                                        ;       Parent Loop BB0_11 Depth=3
                                        ;         Parent Loop BB0_37 Depth=4
                                        ; =>        This Inner Loop Header: Depth=5
	s_sleep 1
	s_memrealtime s[26:27]
	s_waitcnt lgkmcnt(0)
	v_mov_b32_e32 v2, s26
	v_mov_b32_e32 v3, s27
	v_cmp_gt_u64_e32 vcc, s[22:23], v[2:3]
	s_cbranch_vccnz .LBB0_310
.LBB0_311:                              ;   in Loop: Header=BB0_37 Depth=4
	s_or_b64 exec, exec, s[20:21]
	v_mov_b32_e32 v2, s70
	s_and_saveexec_b64 s[20:21], s[12:13]
	s_cbranch_execz .LBB0_313
; %bb.312:                              ;   in Loop: Header=BB0_37 Depth=4
	global_load_dword v2, v[52:53], off offset:2304 glc
.LBB0_313:                              ;   in Loop: Header=BB0_37 Depth=4
	s_or_b64 exec, exec, s[20:21]
	s_waitcnt vmcnt(0)
	v_readfirstlane_b32 s70, v2
.LBB0_314:                              ;   in Loop: Header=BB0_37 Depth=4
	s_and_b64 vcc, exec, s[18:19]
	s_cbranch_vccz .LBB0_37
; %bb.315:                              ;   in Loop: Header=BB0_11 Depth=3
	buffer_load_dword v32, off, s[0:3], s32 offset:60 ; 4-byte Folded Reload
	buffer_load_dword v33, off, s[0:3], s32 offset:64 ; 4-byte Folded Reload
	;; [unrolled: 1-line block ×4, first 2 shown]
	s_mov_b64 s[12:13], 0
	s_waitcnt vmcnt(3)
	v_mov_b32_e32 v20, v32
.LBB0_316:                              ;   in Loop: Header=BB0_11 Depth=3
	v_mov_b32_e32 v9, v50
	s_and_b64 s[12:13], s[12:13], exec
	v_mov_b32_e32 v10, v51
	v_mov_b32_e32 v7, v20
.LBB0_317:                              ;   in Loop: Header=BB0_11 Depth=3
	s_or_b64 exec, exec, s[90:91]
	v_mov_b32_e32 v51, v10
	v_mov_b32_e32 v50, v9
.LBB0_318:                              ;   in Loop: Header=BB0_11 Depth=3
	s_xor_b64 s[12:13], s[12:13], -1
	s_and_b64 s[12:13], exec, s[12:13]
	s_or_b64 s[88:89], s[12:13], s[88:89]
	s_andn2_b64 exec, exec, s[88:89]
	s_cbranch_execnz .LBB0_11
; %bb.319:                              ;   in Loop: Header=BB0_6 Depth=2
	s_or_b64 exec, exec, s[88:89]
	buffer_load_dword v44, off, s[0:3], s32 offset:88 ; 4-byte Folded Reload
	buffer_load_dword v45, off, s[0:3], s32 offset:92 ; 4-byte Folded Reload
	;; [unrolled: 1-line block ×4, first 2 shown]
	v_mov_b32_e32 v54, v1
	s_mov_b64 s[10:11], 0
	v_mov_b32_e32 v53, v0
.LBB0_320:                              ;   in Loop: Header=BB0_6 Depth=2
	s_and_b64 vcc, exec, s[10:11]
	s_cbranch_vccz .LBB0_600
; %bb.321:                              ;   in Loop: Header=BB0_6 Depth=2
	v_mbcnt_lo_u32_b32 v2, exec_lo, 0
	v_mbcnt_hi_u32_b32 v52, exec_hi, v2
	s_bcnt1_i32_b64 s92, exec
	v_cmp_eq_u32_e64 s[10:11], 0, v52
                                        ; implicit-def: $vgpr50_vgpr51
.LBB0_322:                              ;   Parent Loop BB0_3 Depth=1
                                        ;     Parent Loop BB0_6 Depth=2
                                        ; =>    This Loop Header: Depth=3
                                        ;         Child Loop BB0_326 Depth 4
                                        ;         Child Loop BB0_347 Depth 4
                                        ;           Child Loop BB0_365 Depth 5
                                        ;           Child Loop BB0_373 Depth 5
	;; [unrolled: 1-line block ×29, first 2 shown]
                                        ;         Child Loop BB0_582 Depth 4
                                        ;         Child Loop BB0_585 Depth 4
	;; [unrolled: 1-line block ×7, first 2 shown]
	s_cmp_eq_u32 s67, 0
	s_mov_b64 s[12:13], -1
	s_cbranch_scc1 .LBB0_344
; %bb.323:                              ;   in Loop: Header=BB0_322 Depth=3
	v_mov_b32_e32 v2, 0
	s_and_saveexec_b64 s[14:15], s[10:11]
	s_cbranch_execz .LBB0_325
; %bb.324:                              ;   in Loop: Header=BB0_322 Depth=3
	global_load_dword v2, v[28:29], off glc
.LBB0_325:                              ;   in Loop: Header=BB0_322 Depth=3
	s_or_b64 exec, exec, s[14:15]
	s_waitcnt vmcnt(2)
	global_load_dword v9, v[44:45], off offset:8
	v_cvt_f32_u32_e32 v3, s67
	s_sub_i32 s14, 0, s67
	s_mov_b32 s18, s67
	v_rcp_iflag_f32_e32 v3, v3
	v_mul_f32_e32 v3, 0x4f7ffffe, v3
	v_cvt_u32_f32_e32 v3, v3
	v_mul_lo_u32 v4, s14, v3
	s_waitcnt vmcnt(1)
	v_readfirstlane_b32 s14, v2
	v_add_u32_e32 v2, s14, v52
	v_mul_hi_u32 v4, v3, v4
	v_add_u32_e32 v10, v3, v4
	v_mul_hi_u32 v3, v2, v10
	v_mul_lo_u32 v3, v3, s67
	v_sub_u32_e32 v2, v2, v3
	v_subrev_u32_e32 v3, s67, v2
	v_cmp_le_u32_e32 vcc, s67, v2
	v_cndmask_b32_e32 v2, v2, v3, vcc
	v_subrev_u32_e32 v3, s67, v2
	v_cmp_le_u32_e32 vcc, s67, v2
	v_cndmask_b32_e32 v13, v2, v3, vcc
.LBB0_326:                              ;   Parent Loop BB0_3 Depth=1
                                        ;     Parent Loop BB0_6 Depth=2
                                        ;       Parent Loop BB0_322 Depth=3
                                        ; =>      This Inner Loop Header: Depth=4
	v_mov_b32_e32 v6, v36
	v_cmp_lt_u32_e32 vcc, s54, v13
	v_mov_b32_e32 v2, v13
	v_mov_b32_e32 v7, v37
	s_and_saveexec_b64 s[14:15], vcc
	s_cbranch_execz .LBB0_328
; %bb.327:                              ;   in Loop: Header=BB0_326 Depth=4
	v_add_u32_e32 v2, 0xffffff00, v13
	v_lshrrev_b32_e32 v2, 8, v2
	v_mad_u64_u32 v[2:3], s[16:17], v2, 24, v[36:37]
	global_load_dwordx2 v[6:7], v[2:3], off glc
	v_and_b32_e32 v2, 0xff, v13
.LBB0_328:                              ;   in Loop: Header=BB0_326 Depth=4
	s_or_b64 exec, exec, s[14:15]
	s_waitcnt vmcnt(0)
	v_mad_u64_u32 v[2:3], s[14:15], v2, 24, v[6:7]
	global_load_dword v2, v[2:3], off offset:16 glc
	s_waitcnt vmcnt(0)
	v_cmp_lt_u32_e32 vcc, v2, v9
	s_cbranch_vccz .LBB0_330
; %bb.329:                              ;   in Loop: Header=BB0_326 Depth=4
	s_ff1_i32_b64 s14, vcc
	s_lshl_b32 s14, s14, 2
	v_mov_b32_e32 v2, s14
	ds_bpermute_b32 v2, v2, v13
	s_branch .LBB0_331
.LBB0_330:                              ;   in Loop: Header=BB0_326 Depth=4
	v_mov_b32_e32 v2, -1
.LBB0_331:                              ;   in Loop: Header=BB0_326 Depth=4
	s_waitcnt lgkmcnt(0)
	v_readfirstlane_b32 s19, v2
	s_cmp_eq_u32 s19, -1
	s_cselect_b64 s[14:15], -1, 0
	s_mov_b64 s[16:17], -1
	s_and_b64 vcc, exec, s[14:15]
                                        ; implicit-def: $vgpr6_vgpr7
	s_cbranch_vccnz .LBB0_335
; %bb.332:                              ;   in Loop: Header=BB0_326 Depth=4
	v_mov_b32_e32 v6, v36
	s_cmpk_lt_u32 s19, 0x100
	v_mov_b32_e32 v7, v37
	s_cbranch_scc1 .LBB0_334
; %bb.333:                              ;   in Loop: Header=BB0_326 Depth=4
	s_add_i32 s16, s19, 0xffffff00
	s_lshr_b32 s16, s16, 8
	v_mad_u64_u32 v[2:3], s[16:17], s16, 24, v[36:37]
	s_and_b32 s19, s19, 0xff
	global_load_dwordx2 v[6:7], v[2:3], off glc
.LBB0_334:                              ;   in Loop: Header=BB0_326 Depth=4
	s_waitcnt vmcnt(0)
	v_mad_u64_u32 v[6:7], s[16:17], s19, 24, v[6:7]
	s_mov_b64 s[16:17], 0
.LBB0_335:                              ;   in Loop: Header=BB0_326 Depth=4
	s_and_b64 vcc, exec, s[16:17]
	s_cbranch_vccz .LBB0_339
; %bb.336:                              ;   in Loop: Header=BB0_326 Depth=4
	v_add_u32_e32 v2, s92, v13
	v_mul_hi_u32 v3, v2, v10
	v_mul_lo_u32 v3, v3, s67
	v_sub_u32_e32 v2, v2, v3
	v_subrev_u32_e32 v3, s67, v2
	v_cmp_le_u32_e32 vcc, s67, v2
	v_cndmask_b32_e32 v2, v2, v3, vcc
	v_subrev_u32_e32 v3, s67, v2
	v_cmp_le_u32_e32 vcc, s67, v2
	v_cndmask_b32_e32 v13, v2, v3, vcc
	s_and_saveexec_b64 s[16:17], s[10:11]
	s_cbranch_execz .LBB0_338
; %bb.337:                              ;   in Loop: Header=BB0_326 Depth=4
	global_store_dword v[28:29], v13, off
.LBB0_338:                              ;   in Loop: Header=BB0_326 Depth=4
	s_or_b64 exec, exec, s[16:17]
	s_sub_i32 s18, s18, s92
	s_branch .LBB0_340
.LBB0_339:                              ;   in Loop: Header=BB0_326 Depth=4
	v_mov_b32_e32 v51, v7
	v_mov_b32_e32 v50, v6
.LBB0_340:                              ;   in Loop: Header=BB0_326 Depth=4
	s_mov_b64 s[16:17], -1
	s_andn2_b64 vcc, exec, s[14:15]
	s_mov_b64 s[14:15], -1
	s_cbranch_vccnz .LBB0_342
; %bb.341:                              ;   in Loop: Header=BB0_326 Depth=4
	s_cmp_lt_i32 s18, 1
	s_mov_b64 s[16:17], 0
	s_cselect_b64 s[14:15], -1, 0
.LBB0_342:                              ;   in Loop: Header=BB0_326 Depth=4
	s_andn2_b64 vcc, exec, s[14:15]
	s_cbranch_vccnz .LBB0_326
; %bb.343:                              ;   in Loop: Header=BB0_322 Depth=3
	s_xor_b64 s[14:15], s[16:17], -1
	s_branch .LBB0_345
.LBB0_344:                              ;   in Loop: Header=BB0_322 Depth=3
	s_mov_b64 s[14:15], -1
.LBB0_345:                              ;   in Loop: Header=BB0_322 Depth=3
	s_and_b64 vcc, exec, s[14:15]
	s_cbranch_vccz .LBB0_578
; %bb.346:                              ;   in Loop: Header=BB0_322 Depth=3
	v_mbcnt_lo_u32_b32 v2, exec_lo, 0
	v_mbcnt_hi_u32_b32 v2, exec_hi, v2
	v_cmp_eq_u32_e64 s[12:13], 0, v2
                                        ; implicit-def: $vgpr24_vgpr25
.LBB0_347:                              ;   Parent Loop BB0_3 Depth=1
                                        ;     Parent Loop BB0_6 Depth=2
                                        ;       Parent Loop BB0_322 Depth=3
                                        ; =>      This Loop Header: Depth=4
                                        ;           Child Loop BB0_365 Depth 5
                                        ;           Child Loop BB0_373 Depth 5
	;; [unrolled: 1-line block ×29, first 2 shown]
	v_mov_b32_e32 v2, 0
	s_and_saveexec_b64 s[14:15], s[12:13]
	s_cbranch_execz .LBB0_349
; %bb.348:                              ;   in Loop: Header=BB0_347 Depth=4
	global_load_dword v2, v[28:29], off offset:2048 glc
.LBB0_349:                              ;   in Loop: Header=BB0_347 Depth=4
	s_or_b64 exec, exec, s[14:15]
	s_waitcnt vmcnt(0)
	v_readfirstlane_b32 s93, v2
	s_cmp_eq_u32 s93, 0x10100
	s_cbranch_scc1 .LBB0_459
; %bb.350:                              ;   in Loop: Header=BB0_347 Depth=4
	v_mov_b32_e32 v2, 0
	s_and_saveexec_b64 s[14:15], s[12:13]
	s_cbranch_execz .LBB0_352
; %bb.351:                              ;   in Loop: Header=BB0_347 Depth=4
	v_mov_b32_e32 v49, v8
	global_atomic_cmpswap v2, v[30:31], v[48:49], off glc
	s_waitcnt vmcnt(0)
	v_cmp_ne_u32_e32 vcc, 0, v2
	v_cndmask_b32_e32 v2, v48, v2, vcc
.LBB0_352:                              ;   in Loop: Header=BB0_347 Depth=4
	s_or_b64 exec, exec, s[14:15]
	v_readfirstlane_b32 s94, v2
	s_cmp_lg_u32 s93, s94
	s_cbranch_scc1 .LBB0_460
; %bb.353:                              ;   in Loop: Header=BB0_347 Depth=4
	v_mbcnt_lo_u32_b32 v3, exec_lo, 0
	v_mbcnt_hi_u32_b32 v3, exec_hi, v3
	v_mov_b32_e32 v2, 0
	v_cmp_eq_u32_e64 s[14:15], 0, v3
	s_and_saveexec_b64 s[16:17], s[14:15]
	s_cbranch_execz .LBB0_355
; %bb.354:                              ;   in Loop: Header=BB0_347 Depth=4
	global_load_dword v2, v[30:31], off glc
.LBB0_355:                              ;   in Loop: Header=BB0_347 Depth=4
	s_or_b64 exec, exec, s[16:17]
	s_waitcnt vmcnt(0)
	v_readfirstlane_b32 s30, v2
	s_cmp_eq_u32 s30, 0x10100
	s_mov_b32 s22, 2
	s_cbranch_scc1 .LBB0_440
; %bb.356:                              ;   in Loop: Header=BB0_347 Depth=4
	v_mov_b32_e32 v2, 1
	s_and_saveexec_b64 s[16:17], s[14:15]
	s_cbranch_execz .LBB0_360
; %bb.357:                              ;   in Loop: Header=BB0_347 Depth=4
	global_load_dwordx2 v[21:22], v[53:54], off glc
	s_memrealtime s[20:21]
	s_waitcnt lgkmcnt(0)
	v_mov_b32_e32 v3, s21
	s_waitcnt vmcnt(0)
	v_sub_co_u32_e32 v2, vcc, s20, v21
	v_subb_co_u32_e32 v3, vcc, v3, v22, vcc
	v_cmp_lt_u64_e32 vcc, s[58:59], v[2:3]
	v_mov_b32_e32 v2, 1
	s_and_saveexec_b64 s[18:19], vcc
	s_cbranch_execz .LBB0_359
; %bb.358:                              ;   in Loop: Header=BB0_347 Depth=4
	v_mov_b32_e32 v19, s20
	v_mov_b32_e32 v20, s21
	global_atomic_cmpswap_x2 v[2:3], v[53:54], v[19:22], off glc
	s_waitcnt vmcnt(0)
	v_cmp_eq_u64_e32 vcc, v[2:3], v[21:22]
	v_cndmask_b32_e64 v2, 1, 2, vcc
.LBB0_359:                              ;   in Loop: Header=BB0_347 Depth=4
	s_or_b64 exec, exec, s[18:19]
.LBB0_360:                              ;   in Loop: Header=BB0_347 Depth=4
	s_or_b64 exec, exec, s[16:17]
	v_readfirstlane_b32 s95, v2
	s_cmp_eq_u32 s95, 1
	s_mov_b32 s22, 1
	s_cbranch_scc1 .LBB0_440
; %bb.361:                              ;   in Loop: Header=BB0_347 Depth=4
	v_mov_b32_e32 v7, 0
	v_mov_b32_e32 v6, v7
	s_and_saveexec_b64 s[18:19], s[14:15]
	s_cbranch_execz .LBB0_390
; %bb.362:                              ;   in Loop: Header=BB0_347 Depth=4
	s_load_dwordx2 s[20:21], s[8:9], 0x50
	v_readfirstlane_b32 s16, v60
	v_mov_b32_e32 v6, 0
	v_mov_b32_e32 v7, 0
	v_cmp_eq_u32_e64 s[16:17], s16, v60
	s_and_saveexec_b64 s[22:23], s[16:17]
	s_cbranch_execz .LBB0_368
; %bb.363:                              ;   in Loop: Header=BB0_347 Depth=4
	s_waitcnt lgkmcnt(0)
	global_load_dwordx2 v[4:5], v8, s[20:21] offset:24 glc
	s_waitcnt vmcnt(0)
	buffer_wbinvl1_vol
	global_load_dwordx2 v[2:3], v8, s[20:21] offset:40
	global_load_dwordx2 v[6:7], v8, s[20:21]
	s_waitcnt vmcnt(1)
	v_and_b32_e32 v2, v2, v4
	v_and_b32_e32 v3, v3, v5
	v_mul_lo_u32 v3, v3, 24
	v_mul_hi_u32 v9, v2, 24
	v_mul_lo_u32 v2, v2, 24
	v_add_u32_e32 v3, v9, v3
	s_waitcnt vmcnt(0)
	v_add_co_u32_e32 v2, vcc, v6, v2
	v_addc_co_u32_e32 v3, vcc, v7, v3, vcc
	global_load_dwordx2 v[2:3], v[2:3], off glc
	s_waitcnt vmcnt(0)
	global_atomic_cmpswap_x2 v[6:7], v8, v[2:5], s[20:21] offset:24 glc
	s_waitcnt vmcnt(0)
	buffer_wbinvl1_vol
	v_cmp_ne_u64_e32 vcc, v[6:7], v[4:5]
	s_and_saveexec_b64 s[26:27], vcc
	s_cbranch_execz .LBB0_367
; %bb.364:                              ;   in Loop: Header=BB0_347 Depth=4
	s_mov_b64 s[88:89], 0
.LBB0_365:                              ;   Parent Loop BB0_3 Depth=1
                                        ;     Parent Loop BB0_6 Depth=2
                                        ;       Parent Loop BB0_322 Depth=3
                                        ;         Parent Loop BB0_347 Depth=4
                                        ; =>        This Inner Loop Header: Depth=5
	s_sleep 1
	global_load_dwordx2 v[2:3], v8, s[20:21] offset:40
	global_load_dwordx2 v[9:10], v8, s[20:21]
	v_mov_b32_e32 v4, v6
	v_mov_b32_e32 v5, v7
	s_waitcnt vmcnt(1)
	v_and_b32_e32 v2, v2, v4
	s_waitcnt vmcnt(0)
	v_mad_u64_u32 v[6:7], s[90:91], v2, 24, v[9:10]
	v_and_b32_e32 v3, v3, v5
	v_mov_b32_e32 v2, v7
	v_mad_u64_u32 v[2:3], s[90:91], v3, 24, v[2:3]
	v_mov_b32_e32 v7, v2
	global_load_dwordx2 v[2:3], v[6:7], off glc
	s_waitcnt vmcnt(0)
	global_atomic_cmpswap_x2 v[6:7], v8, v[2:5], s[20:21] offset:24 glc
	s_waitcnt vmcnt(0)
	buffer_wbinvl1_vol
	v_cmp_eq_u64_e32 vcc, v[6:7], v[4:5]
	s_or_b64 s[88:89], vcc, s[88:89]
	s_andn2_b64 exec, exec, s[88:89]
	s_cbranch_execnz .LBB0_365
; %bb.366:                              ;   in Loop: Header=BB0_347 Depth=4
	s_or_b64 exec, exec, s[88:89]
.LBB0_367:                              ;   in Loop: Header=BB0_347 Depth=4
	s_or_b64 exec, exec, s[26:27]
.LBB0_368:                              ;   in Loop: Header=BB0_347 Depth=4
	s_or_b64 exec, exec, s[22:23]
	s_waitcnt lgkmcnt(0)
	global_load_dwordx2 v[2:3], v8, s[20:21] offset:40
	global_load_dwordx4 v[19:22], v8, s[20:21]
	v_readfirstlane_b32 s23, v7
	v_readfirstlane_b32 s22, v6
	s_mov_b64 s[26:27], exec
	s_waitcnt vmcnt(1)
	v_readfirstlane_b32 s88, v2
	v_readfirstlane_b32 s89, v3
	s_and_b64 s[88:89], s[88:89], s[22:23]
	s_mul_i32 s25, s89, 24
	s_mul_hi_u32 s90, s88, 24
	s_mul_i32 s91, s88, 24
	s_add_i32 s25, s90, s25
	v_mov_b32_e32 v2, s25
	s_waitcnt vmcnt(0)
	v_add_co_u32_e32 v26, vcc, s91, v19
	v_addc_co_u32_e32 v27, vcc, v20, v2, vcc
	s_and_saveexec_b64 s[90:91], s[16:17]
	s_cbranch_execz .LBB0_370
; %bb.369:                              ;   in Loop: Header=BB0_347 Depth=4
	v_mov_b32_e32 v9, s26
	v_mov_b32_e32 v10, s27
	global_store_dwordx4 v[26:27], v[9:12], off offset:8
.LBB0_370:                              ;   in Loop: Header=BB0_347 Depth=4
	s_or_b64 exec, exec, s[90:91]
	s_lshl_b64 s[26:27], s[88:89], 12
	v_mov_b32_e32 v2, s27
	v_add_co_u32_e32 v17, vcc, s26, v21
	v_addc_co_u32_e32 v2, vcc, v22, v2, vcc
	s_mov_b32 s25, s24
	s_mov_b32 s26, s24
	;; [unrolled: 1-line block ×3, first 2 shown]
	v_mov_b32_e32 v4, s24
	v_lshlrev_b32_e32 v3, 6, v60
	v_mov_b32_e32 v13, v8
	v_mov_b32_e32 v14, v8
	;; [unrolled: 1-line block ×3, first 2 shown]
	v_readfirstlane_b32 s88, v17
	v_readfirstlane_b32 s89, v2
	v_mov_b32_e32 v5, s25
	v_mov_b32_e32 v6, s26
	;; [unrolled: 1-line block ×3, first 2 shown]
	s_nop 1
	global_store_dwordx4 v3, v[13:16], s[88:89]
	global_store_dwordx4 v3, v[4:7], s[88:89] offset:16
	global_store_dwordx4 v3, v[4:7], s[88:89] offset:32
	;; [unrolled: 1-line block ×3, first 2 shown]
	s_and_saveexec_b64 s[26:27], s[16:17]
	s_cbranch_execz .LBB0_378
; %bb.371:                              ;   in Loop: Header=BB0_347 Depth=4
	global_load_dwordx2 v[42:43], v8, s[20:21] offset:32 glc
	global_load_dwordx2 v[4:5], v8, s[20:21] offset:40
	v_mov_b32_e32 v40, s22
	v_mov_b32_e32 v41, s23
	s_waitcnt vmcnt(0)
	v_and_b32_e32 v4, s22, v4
	v_and_b32_e32 v5, s23, v5
	v_mul_lo_u32 v5, v5, 24
	v_mul_hi_u32 v6, v4, 24
	v_mul_lo_u32 v4, v4, 24
	v_add_u32_e32 v5, v6, v5
	v_add_co_u32_e32 v6, vcc, v19, v4
	v_addc_co_u32_e32 v7, vcc, v20, v5, vcc
	global_store_dwordx2 v[6:7], v[42:43], off
	s_waitcnt vmcnt(0)
	global_atomic_cmpswap_x2 v[21:22], v8, v[40:43], s[20:21] offset:32 glc
	s_waitcnt vmcnt(0)
	v_cmp_ne_u64_e32 vcc, v[21:22], v[42:43]
	s_and_saveexec_b64 s[88:89], vcc
	s_cbranch_execz .LBB0_374
; %bb.372:                              ;   in Loop: Header=BB0_347 Depth=4
	s_mov_b64 s[90:91], 0
.LBB0_373:                              ;   Parent Loop BB0_3 Depth=1
                                        ;     Parent Loop BB0_6 Depth=2
                                        ;       Parent Loop BB0_322 Depth=3
                                        ;         Parent Loop BB0_347 Depth=4
                                        ; =>        This Inner Loop Header: Depth=5
	s_sleep 1
	global_store_dwordx2 v[6:7], v[21:22], off
	v_mov_b32_e32 v19, s22
	v_mov_b32_e32 v20, s23
	s_waitcnt vmcnt(0)
	global_atomic_cmpswap_x2 v[4:5], v8, v[19:22], s[20:21] offset:32 glc
	s_waitcnt vmcnt(0)
	v_cmp_eq_u64_e32 vcc, v[4:5], v[21:22]
	v_mov_b32_e32 v22, v5
	s_or_b64 s[90:91], vcc, s[90:91]
	v_mov_b32_e32 v21, v4
	s_andn2_b64 exec, exec, s[90:91]
	s_cbranch_execnz .LBB0_373
.LBB0_374:                              ;   in Loop: Header=BB0_347 Depth=4
	s_or_b64 exec, exec, s[88:89]
	global_load_dwordx2 v[9:10], v8, s[20:21] offset:16
	s_mov_b64 s[90:91], exec
	v_mbcnt_lo_u32_b32 v4, s90, 0
	v_mbcnt_hi_u32_b32 v4, s91, v4
	v_cmp_eq_u32_e32 vcc, 0, v4
	s_and_saveexec_b64 s[88:89], vcc
	s_cbranch_execz .LBB0_376
; %bb.375:                              ;   in Loop: Header=BB0_347 Depth=4
	s_bcnt1_i32_b64 s25, s[90:91]
	v_mov_b32_e32 v7, s25
	s_waitcnt vmcnt(0)
	global_atomic_add_x2 v[9:10], v[7:8], off offset:8
.LBB0_376:                              ;   in Loop: Header=BB0_347 Depth=4
	s_or_b64 exec, exec, s[88:89]
	s_waitcnt vmcnt(0)
	global_load_dwordx2 v[13:14], v[9:10], off offset:16
	s_waitcnt vmcnt(0)
	v_cmp_eq_u64_e32 vcc, 0, v[13:14]
	s_cbranch_vccnz .LBB0_378
; %bb.377:                              ;   in Loop: Header=BB0_347 Depth=4
	global_load_dword v7, v[9:10], off offset:24
	s_waitcnt vmcnt(0)
	v_readfirstlane_b32 s25, v7
	s_and_b32 m0, s25, 0xffffff
	global_store_dwordx2 v[13:14], v[7:8], off
	s_sendmsg sendmsg(MSG_INTERRUPT)
.LBB0_378:                              ;   in Loop: Header=BB0_347 Depth=4
	s_or_b64 exec, exec, s[26:27]
	v_add_co_u32_e32 v6, vcc, v17, v3
	v_addc_co_u32_e32 v7, vcc, 0, v2, vcc
.LBB0_379:                              ;   Parent Loop BB0_3 Depth=1
                                        ;     Parent Loop BB0_6 Depth=2
                                        ;       Parent Loop BB0_322 Depth=3
                                        ;         Parent Loop BB0_347 Depth=4
                                        ; =>        This Inner Loop Header: Depth=5
	v_mov_b32_e32 v2, 1
	s_and_saveexec_b64 s[26:27], s[16:17]
	s_cbranch_execz .LBB0_381
; %bb.380:                              ;   in Loop: Header=BB0_379 Depth=5
	global_load_dword v2, v[26:27], off offset:20 glc
	s_waitcnt vmcnt(0)
	buffer_wbinvl1_vol
	v_and_b32_e32 v2, 1, v2
.LBB0_381:                              ;   in Loop: Header=BB0_379 Depth=5
	s_or_b64 exec, exec, s[26:27]
	v_readfirstlane_b32 s25, v2
	s_cmp_eq_u32 s25, 0
	s_cbranch_scc1 .LBB0_383
; %bb.382:                              ;   in Loop: Header=BB0_379 Depth=5
	s_mov_b64 s[26:27], 0
	s_sleep 1
	s_branch .LBB0_384
.LBB0_383:                              ;   in Loop: Header=BB0_379 Depth=5
	s_mov_b64 s[26:27], -1
.LBB0_384:                              ;   in Loop: Header=BB0_379 Depth=5
	s_andn2_b64 vcc, exec, s[26:27]
	s_cbranch_vccnz .LBB0_379
; %bb.385:                              ;   in Loop: Header=BB0_347 Depth=4
	global_load_dwordx2 v[6:7], v[6:7], off
	s_and_saveexec_b64 s[26:27], s[16:17]
	s_cbranch_execz .LBB0_389
; %bb.386:                              ;   in Loop: Header=BB0_347 Depth=4
	global_load_dwordx2 v[2:3], v8, s[20:21] offset:40
	global_load_dwordx2 v[4:5], v8, s[20:21] offset:24 glc
	global_load_dwordx2 v[9:10], v8, s[20:21]
	s_waitcnt vmcnt(2)
	v_readfirstlane_b32 s88, v2
	v_readfirstlane_b32 s89, v3
	s_add_u32 s25, s88, 1
	s_addc_u32 s90, s89, 0
	s_add_u32 s16, s25, s22
	s_addc_u32 s17, s90, s23
	s_cmp_eq_u64 s[16:17], 0
	s_cselect_b32 s17, s90, s17
	s_cselect_b32 s16, s25, s16
	s_and_b64 s[22:23], s[16:17], s[88:89]
	s_mul_i32 s23, s23, 24
	s_mul_hi_u32 s25, s22, 24
	s_mul_i32 s22, s22, 24
	s_add_i32 s23, s25, s23
	v_mov_b32_e32 v3, s23
	s_waitcnt vmcnt(0)
	v_add_co_u32_e32 v9, vcc, s22, v9
	v_addc_co_u32_e32 v10, vcc, v10, v3, vcc
	v_mov_b32_e32 v2, s16
	global_store_dwordx2 v[9:10], v[4:5], off
	v_mov_b32_e32 v3, s17
	s_waitcnt vmcnt(0)
	global_atomic_cmpswap_x2 v[21:22], v8, v[2:5], s[20:21] offset:24 glc
	s_waitcnt vmcnt(0)
	v_cmp_ne_u64_e32 vcc, v[21:22], v[4:5]
	s_and_b64 exec, exec, vcc
	s_cbranch_execz .LBB0_389
; %bb.387:                              ;   in Loop: Header=BB0_347 Depth=4
	s_mov_b64 s[22:23], 0
.LBB0_388:                              ;   Parent Loop BB0_3 Depth=1
                                        ;     Parent Loop BB0_6 Depth=2
                                        ;       Parent Loop BB0_322 Depth=3
                                        ;         Parent Loop BB0_347 Depth=4
                                        ; =>        This Inner Loop Header: Depth=5
	s_sleep 1
	global_store_dwordx2 v[9:10], v[21:22], off
	v_mov_b32_e32 v19, s16
	v_mov_b32_e32 v20, s17
	s_waitcnt vmcnt(0)
	global_atomic_cmpswap_x2 v[2:3], v8, v[19:22], s[20:21] offset:24 glc
	s_waitcnt vmcnt(0)
	v_cmp_eq_u64_e32 vcc, v[2:3], v[21:22]
	v_mov_b32_e32 v22, v3
	s_or_b64 s[22:23], vcc, s[22:23]
	v_mov_b32_e32 v21, v2
	s_andn2_b64 exec, exec, s[22:23]
	s_cbranch_execnz .LBB0_388
.LBB0_389:                              ;   in Loop: Header=BB0_347 Depth=4
	s_or_b64 exec, exec, s[26:27]
.LBB0_390:                              ;   in Loop: Header=BB0_347 Depth=4
	s_or_b64 exec, exec, s[18:19]
	s_waitcnt vmcnt(0)
	v_readfirstlane_b32 s20, v6
	v_readfirstlane_b32 s21, v7
	s_cmp_eq_u64 s[20:21], 0
	s_cbranch_scc1 .LBB0_439
; %bb.391:                              ;   in Loop: Header=BB0_347 Depth=4
	s_mov_b64 s[16:17], exec
	v_mbcnt_lo_u32_b32 v2, exec_lo, 0
	v_mbcnt_hi_u32_b32 v2, s17, v2
	v_cmp_gt_u32_e32 vcc, s64, v2
	s_and_saveexec_b64 s[18:19], vcc
	s_cbranch_execz .LBB0_394
; %bb.392:                              ;   in Loop: Header=BB0_347 Depth=4
	v_lshlrev_b32_e32 v3, 3, v2
	s_bcnt1_i32_b64 s25, s[16:17]
	v_mov_b32_e32 v4, s21
	v_add_co_u32_e32 v6, vcc, s20, v3
	v_addc_co_u32_e32 v7, vcc, 0, v4, vcc
	s_lshl_b32 s26, s25, 3
	s_mov_b64 s[22:23], 0
.LBB0_393:                              ;   Parent Loop BB0_3 Depth=1
                                        ;     Parent Loop BB0_6 Depth=2
                                        ;       Parent Loop BB0_322 Depth=3
                                        ;         Parent Loop BB0_347 Depth=4
                                        ; =>        This Inner Loop Header: Depth=5
	v_mov_b32_e32 v9, v8
	v_add_u32_e32 v2, s25, v2
	global_store_dwordx2 v[6:7], v[8:9], off
	v_add_co_u32_e32 v6, vcc, s26, v6
	v_cmp_lt_u32_e64 s[16:17], s65, v2
	s_or_b64 s[22:23], s[16:17], s[22:23]
	v_addc_co_u32_e32 v7, vcc, 0, v7, vcc
	s_andn2_b64 exec, exec, s[22:23]
	s_cbranch_execnz .LBB0_393
.LBB0_394:                              ;   in Loop: Header=BB0_347 Depth=4
	s_or_b64 exec, exec, s[18:19]
.LBB0_395:                              ;   Parent Loop BB0_3 Depth=1
                                        ;     Parent Loop BB0_6 Depth=2
                                        ;       Parent Loop BB0_322 Depth=3
                                        ;         Parent Loop BB0_347 Depth=4
                                        ; =>        This Inner Loop Header: Depth=5
	v_mov_b32_e32 v2, s30
	s_and_saveexec_b64 s[16:17], s[14:15]
	s_cbranch_execz .LBB0_397
; %bb.396:                              ;   in Loop: Header=BB0_395 Depth=5
	global_load_dword v2, v[30:31], off glc
.LBB0_397:                              ;   in Loop: Header=BB0_395 Depth=5
	s_or_b64 exec, exec, s[16:17]
	s_waitcnt vmcnt(0)
	v_readfirstlane_b32 s30, v2
	s_cmp_lg_u32 s30, 0x10100
	s_mov_b64 s[16:17], -1
	s_cbranch_scc0 .LBB0_404
; %bb.398:                              ;   in Loop: Header=BB0_395 Depth=5
	v_mov_b32_e32 v2, s95
	s_and_saveexec_b64 s[16:17], s[14:15]
	s_cbranch_execz .LBB0_402
; %bb.399:                              ;   in Loop: Header=BB0_395 Depth=5
	s_add_i32 s18, s30, 0xffffff00
	s_lshr_b32 s18, s18, 8
	v_mad_u64_u32 v[2:3], s[18:19], s18, 24, v[36:37]
	v_mov_b32_e32 v6, s20
	v_mov_b32_e32 v7, s21
	;; [unrolled: 1-line block ×3, first 2 shown]
	global_atomic_cmpswap_x2 v[2:3], v[2:3], v[6:9], off glc
	s_waitcnt vmcnt(0)
	v_cmp_eq_u64_e32 vcc, 0, v[2:3]
	v_mov_b32_e32 v2, s95
	s_and_saveexec_b64 s[18:19], vcc
	s_cbranch_execz .LBB0_401
; %bb.400:                              ;   in Loop: Header=BB0_395 Depth=5
	global_atomic_add v[30:31], v48, off
	v_mov_b32_e32 v2, 0
.LBB0_401:                              ;   in Loop: Header=BB0_395 Depth=5
	s_or_b64 exec, exec, s[18:19]
.LBB0_402:                              ;   in Loop: Header=BB0_395 Depth=5
	s_or_b64 exec, exec, s[16:17]
	v_readfirstlane_b32 s16, v2
	s_cmp_eq_u32 s16, 0
	s_cbranch_scc1 .LBB0_405
; %bb.403:                              ;   in Loop: Header=BB0_395 Depth=5
	s_mov_b64 s[18:19], 0
	s_mov_b32 s95, s16
	s_sleep 2
	s_branch .LBB0_406
.LBB0_404:                              ;   in Loop: Header=BB0_395 Depth=5
	s_mov_b64 s[18:19], -1
	s_branch .LBB0_407
.LBB0_405:                              ;   in Loop: Header=BB0_395 Depth=5
	s_mov_b64 s[18:19], -1
.LBB0_406:                              ;   in Loop: Header=BB0_395 Depth=5
	s_mov_b64 s[16:17], 0
.LBB0_407:                              ;   in Loop: Header=BB0_395 Depth=5
	s_and_b64 vcc, exec, s[18:19]
	s_cbranch_vccz .LBB0_395
; %bb.408:                              ;   in Loop: Header=BB0_347 Depth=4
	s_mov_b32 s18, 0
	s_and_b64 vcc, exec, s[16:17]
	s_cbranch_vccz .LBB0_438
; %bb.409:                              ;   in Loop: Header=BB0_347 Depth=4
	s_and_saveexec_b64 s[16:17], s[14:15]
	s_cbranch_execz .LBB0_437
; %bb.410:                              ;   in Loop: Header=BB0_347 Depth=4
	s_load_dwordx2 s[18:19], s[8:9], 0x50
	v_readfirstlane_b32 s14, v60
	v_mov_b32_e32 v6, 0
	v_mov_b32_e32 v7, 0
	v_cmp_eq_u32_e64 s[14:15], s14, v60
	s_and_saveexec_b64 s[22:23], s[14:15]
	s_cbranch_execz .LBB0_416
; %bb.411:                              ;   in Loop: Header=BB0_347 Depth=4
	s_waitcnt lgkmcnt(0)
	global_load_dwordx2 v[4:5], v8, s[18:19] offset:24 glc
	s_waitcnt vmcnt(0)
	buffer_wbinvl1_vol
	global_load_dwordx2 v[2:3], v8, s[18:19] offset:40
	global_load_dwordx2 v[6:7], v8, s[18:19]
	s_waitcnt vmcnt(1)
	v_and_b32_e32 v2, v2, v4
	v_and_b32_e32 v3, v3, v5
	v_mul_lo_u32 v3, v3, 24
	v_mul_hi_u32 v9, v2, 24
	v_mul_lo_u32 v2, v2, 24
	v_add_u32_e32 v3, v9, v3
	s_waitcnt vmcnt(0)
	v_add_co_u32_e32 v2, vcc, v6, v2
	v_addc_co_u32_e32 v3, vcc, v7, v3, vcc
	global_load_dwordx2 v[2:3], v[2:3], off glc
	s_waitcnt vmcnt(0)
	global_atomic_cmpswap_x2 v[6:7], v8, v[2:5], s[18:19] offset:24 glc
	s_waitcnt vmcnt(0)
	buffer_wbinvl1_vol
	v_cmp_ne_u64_e32 vcc, v[6:7], v[4:5]
	s_and_saveexec_b64 s[26:27], vcc
	s_cbranch_execz .LBB0_415
; %bb.412:                              ;   in Loop: Header=BB0_347 Depth=4
	s_mov_b64 s[88:89], 0
.LBB0_413:                              ;   Parent Loop BB0_3 Depth=1
                                        ;     Parent Loop BB0_6 Depth=2
                                        ;       Parent Loop BB0_322 Depth=3
                                        ;         Parent Loop BB0_347 Depth=4
                                        ; =>        This Inner Loop Header: Depth=5
	s_sleep 1
	global_load_dwordx2 v[2:3], v8, s[18:19] offset:40
	global_load_dwordx2 v[9:10], v8, s[18:19]
	v_mov_b32_e32 v4, v6
	v_mov_b32_e32 v5, v7
	s_waitcnt vmcnt(1)
	v_and_b32_e32 v2, v2, v4
	s_waitcnt vmcnt(0)
	v_mad_u64_u32 v[6:7], s[90:91], v2, 24, v[9:10]
	v_and_b32_e32 v3, v3, v5
	v_mov_b32_e32 v2, v7
	v_mad_u64_u32 v[2:3], s[90:91], v3, 24, v[2:3]
	v_mov_b32_e32 v7, v2
	global_load_dwordx2 v[2:3], v[6:7], off glc
	s_waitcnt vmcnt(0)
	global_atomic_cmpswap_x2 v[6:7], v8, v[2:5], s[18:19] offset:24 glc
	s_waitcnt vmcnt(0)
	buffer_wbinvl1_vol
	v_cmp_eq_u64_e32 vcc, v[6:7], v[4:5]
	s_or_b64 s[88:89], vcc, s[88:89]
	s_andn2_b64 exec, exec, s[88:89]
	s_cbranch_execnz .LBB0_413
; %bb.414:                              ;   in Loop: Header=BB0_347 Depth=4
	s_or_b64 exec, exec, s[88:89]
.LBB0_415:                              ;   in Loop: Header=BB0_347 Depth=4
	s_or_b64 exec, exec, s[26:27]
.LBB0_416:                              ;   in Loop: Header=BB0_347 Depth=4
	s_or_b64 exec, exec, s[22:23]
	s_waitcnt lgkmcnt(0)
	global_load_dwordx2 v[2:3], v8, s[18:19] offset:40
	global_load_dwordx4 v[19:22], v8, s[18:19]
	v_readfirstlane_b32 s23, v7
	v_readfirstlane_b32 s22, v6
	s_mov_b64 s[26:27], exec
	s_waitcnt vmcnt(1)
	v_readfirstlane_b32 s88, v2
	v_readfirstlane_b32 s89, v3
	s_and_b64 s[88:89], s[88:89], s[22:23]
	s_mul_i32 s25, s89, 24
	s_mul_hi_u32 s90, s88, 24
	s_mul_i32 s91, s88, 24
	s_add_i32 s25, s90, s25
	v_mov_b32_e32 v2, s25
	s_waitcnt vmcnt(0)
	v_add_co_u32_e32 v13, vcc, s91, v19
	v_addc_co_u32_e32 v14, vcc, v20, v2, vcc
	s_and_saveexec_b64 s[90:91], s[14:15]
	s_cbranch_execz .LBB0_418
; %bb.417:                              ;   in Loop: Header=BB0_347 Depth=4
	v_mov_b32_e32 v9, s26
	v_mov_b32_e32 v10, s27
	global_store_dwordx4 v[13:14], v[9:12], off offset:8
.LBB0_418:                              ;   in Loop: Header=BB0_347 Depth=4
	s_or_b64 exec, exec, s[90:91]
	s_lshl_b64 s[26:27], s[88:89], 12
	v_mov_b32_e32 v2, s27
	v_add_co_u32_e32 v4, vcc, s26, v21
	v_addc_co_u32_e32 v5, vcc, v22, v2, vcc
	v_mov_b32_e32 v2, s20
	v_lshlrev_b32_e32 v6, 6, v60
	v_mov_b32_e32 v3, s21
	v_readfirstlane_b32 s20, v4
	v_readfirstlane_b32 s21, v5
	s_mov_b32 s25, s24
	s_mov_b32 s26, s24
	;; [unrolled: 1-line block ×3, first 2 shown]
	v_mov_b32_e32 v9, v8
	s_nop 0
	global_store_dwordx2 v6, v[2:3], s[20:21]
	v_mov_b32_e32 v2, s24
	v_mov_b32_e32 v3, s25
	;; [unrolled: 1-line block ×4, first 2 shown]
	global_store_dwordx4 v6, v[2:5], s[20:21] offset:8
	global_store_dwordx4 v6, v[2:5], s[20:21] offset:24
	global_store_dwordx4 v6, v[2:5], s[20:21] offset:40
	global_store_dwordx2 v6, v[8:9], s[20:21] offset:56
	s_and_saveexec_b64 s[20:21], s[14:15]
	s_cbranch_execz .LBB0_426
; %bb.419:                              ;   in Loop: Header=BB0_347 Depth=4
	global_load_dwordx2 v[4:5], v8, s[18:19] offset:32 glc
	global_load_dwordx2 v[2:3], v8, s[18:19] offset:40
	s_waitcnt vmcnt(0)
	v_and_b32_e32 v2, s22, v2
	v_and_b32_e32 v3, s23, v3
	v_mul_lo_u32 v3, v3, 24
	v_mul_hi_u32 v6, v2, 24
	v_mul_lo_u32 v7, v2, 24
	v_mov_b32_e32 v2, s22
	v_add_u32_e32 v3, v6, v3
	v_add_co_u32_e32 v6, vcc, v19, v7
	v_addc_co_u32_e32 v7, vcc, v20, v3, vcc
	global_store_dwordx2 v[6:7], v[4:5], off
	v_mov_b32_e32 v3, s23
	s_waitcnt vmcnt(0)
	global_atomic_cmpswap_x2 v[21:22], v8, v[2:5], s[18:19] offset:32 glc
	s_waitcnt vmcnt(0)
	v_cmp_ne_u64_e32 vcc, v[21:22], v[4:5]
	s_and_saveexec_b64 s[26:27], vcc
	s_cbranch_execz .LBB0_422
; %bb.420:                              ;   in Loop: Header=BB0_347 Depth=4
	s_mov_b64 s[88:89], 0
.LBB0_421:                              ;   Parent Loop BB0_3 Depth=1
                                        ;     Parent Loop BB0_6 Depth=2
                                        ;       Parent Loop BB0_322 Depth=3
                                        ;         Parent Loop BB0_347 Depth=4
                                        ; =>        This Inner Loop Header: Depth=5
	s_sleep 1
	global_store_dwordx2 v[6:7], v[21:22], off
	v_mov_b32_e32 v19, s22
	v_mov_b32_e32 v20, s23
	s_waitcnt vmcnt(0)
	global_atomic_cmpswap_x2 v[2:3], v8, v[19:22], s[18:19] offset:32 glc
	s_waitcnt vmcnt(0)
	v_cmp_eq_u64_e32 vcc, v[2:3], v[21:22]
	v_mov_b32_e32 v22, v3
	s_or_b64 s[88:89], vcc, s[88:89]
	v_mov_b32_e32 v21, v2
	s_andn2_b64 exec, exec, s[88:89]
	s_cbranch_execnz .LBB0_421
.LBB0_422:                              ;   in Loop: Header=BB0_347 Depth=4
	s_or_b64 exec, exec, s[26:27]
	global_load_dwordx2 v[9:10], v8, s[18:19] offset:16
	s_mov_b64 s[88:89], exec
	v_mbcnt_lo_u32_b32 v2, s88, 0
	v_mbcnt_hi_u32_b32 v2, s89, v2
	v_cmp_eq_u32_e32 vcc, 0, v2
	s_and_saveexec_b64 s[26:27], vcc
	s_cbranch_execz .LBB0_424
; %bb.423:                              ;   in Loop: Header=BB0_347 Depth=4
	s_bcnt1_i32_b64 s25, s[88:89]
	v_mov_b32_e32 v7, s25
	s_waitcnt vmcnt(0)
	global_atomic_add_x2 v[9:10], v[7:8], off offset:8
.LBB0_424:                              ;   in Loop: Header=BB0_347 Depth=4
	s_or_b64 exec, exec, s[26:27]
	s_waitcnt vmcnt(0)
	global_load_dwordx2 v[16:17], v[9:10], off offset:16
	s_waitcnt vmcnt(0)
	v_cmp_eq_u64_e32 vcc, 0, v[16:17]
	s_cbranch_vccnz .LBB0_426
; %bb.425:                              ;   in Loop: Header=BB0_347 Depth=4
	global_load_dword v7, v[9:10], off offset:24
	s_waitcnt vmcnt(0)
	v_readfirstlane_b32 s25, v7
	s_and_b32 m0, s25, 0xffffff
	global_store_dwordx2 v[16:17], v[7:8], off
	s_sendmsg sendmsg(MSG_INTERRUPT)
.LBB0_426:                              ;   in Loop: Header=BB0_347 Depth=4
	s_or_b64 exec, exec, s[20:21]
.LBB0_427:                              ;   Parent Loop BB0_3 Depth=1
                                        ;     Parent Loop BB0_6 Depth=2
                                        ;       Parent Loop BB0_322 Depth=3
                                        ;         Parent Loop BB0_347 Depth=4
                                        ; =>        This Inner Loop Header: Depth=5
	v_mov_b32_e32 v2, 1
	s_and_saveexec_b64 s[20:21], s[14:15]
	s_cbranch_execz .LBB0_429
; %bb.428:                              ;   in Loop: Header=BB0_427 Depth=5
	global_load_dword v2, v[13:14], off offset:20 glc
	s_waitcnt vmcnt(0)
	buffer_wbinvl1_vol
	v_and_b32_e32 v2, 1, v2
.LBB0_429:                              ;   in Loop: Header=BB0_427 Depth=5
	s_or_b64 exec, exec, s[20:21]
	v_readfirstlane_b32 s20, v2
	s_cmp_eq_u32 s20, 0
	s_cbranch_scc1 .LBB0_431
; %bb.430:                              ;   in Loop: Header=BB0_427 Depth=5
	s_mov_b64 s[20:21], 0
	s_sleep 1
	s_branch .LBB0_432
.LBB0_431:                              ;   in Loop: Header=BB0_427 Depth=5
	s_mov_b64 s[20:21], -1
.LBB0_432:                              ;   in Loop: Header=BB0_427 Depth=5
	s_andn2_b64 vcc, exec, s[20:21]
	s_cbranch_vccnz .LBB0_427
; %bb.433:                              ;   in Loop: Header=BB0_347 Depth=4
	s_and_b64 exec, exec, s[14:15]
	s_cbranch_execz .LBB0_437
; %bb.434:                              ;   in Loop: Header=BB0_347 Depth=4
	global_load_dwordx2 v[2:3], v8, s[18:19] offset:40
	global_load_dwordx2 v[4:5], v8, s[18:19] offset:24 glc
	global_load_dwordx2 v[6:7], v8, s[18:19]
	s_waitcnt vmcnt(2)
	v_readfirstlane_b32 s20, v2
	v_readfirstlane_b32 s21, v3
	s_add_u32 s25, s20, 1
	s_addc_u32 s26, s21, 0
	s_add_u32 s14, s25, s22
	s_addc_u32 s15, s26, s23
	s_cmp_eq_u64 s[14:15], 0
	s_cselect_b32 s15, s26, s15
	s_cselect_b32 s14, s25, s14
	s_and_b64 s[20:21], s[14:15], s[20:21]
	s_mul_i32 s21, s21, 24
	s_mul_hi_u32 s22, s20, 24
	s_mul_i32 s20, s20, 24
	s_add_i32 s21, s22, s21
	v_mov_b32_e32 v3, s21
	s_waitcnt vmcnt(0)
	v_add_co_u32_e32 v6, vcc, s20, v6
	v_addc_co_u32_e32 v7, vcc, v7, v3, vcc
	v_mov_b32_e32 v2, s14
	global_store_dwordx2 v[6:7], v[4:5], off
	v_mov_b32_e32 v3, s15
	s_waitcnt vmcnt(0)
	global_atomic_cmpswap_x2 v[21:22], v8, v[2:5], s[18:19] offset:24 glc
	s_waitcnt vmcnt(0)
	v_cmp_ne_u64_e32 vcc, v[21:22], v[4:5]
	s_and_b64 exec, exec, vcc
	s_cbranch_execz .LBB0_437
; %bb.435:                              ;   in Loop: Header=BB0_347 Depth=4
	s_mov_b64 s[20:21], 0
.LBB0_436:                              ;   Parent Loop BB0_3 Depth=1
                                        ;     Parent Loop BB0_6 Depth=2
                                        ;       Parent Loop BB0_322 Depth=3
                                        ;         Parent Loop BB0_347 Depth=4
                                        ; =>        This Inner Loop Header: Depth=5
	s_sleep 1
	global_store_dwordx2 v[6:7], v[21:22], off
	v_mov_b32_e32 v19, s14
	v_mov_b32_e32 v20, s15
	s_waitcnt vmcnt(0)
	global_atomic_cmpswap_x2 v[2:3], v8, v[19:22], s[18:19] offset:24 glc
	s_waitcnt vmcnt(0)
	v_cmp_eq_u64_e32 vcc, v[2:3], v[21:22]
	v_mov_b32_e32 v22, v3
	s_or_b64 s[20:21], vcc, s[20:21]
	v_mov_b32_e32 v21, v2
	s_andn2_b64 exec, exec, s[20:21]
	s_cbranch_execnz .LBB0_436
.LBB0_437:                              ;   in Loop: Header=BB0_347 Depth=4
	s_or_b64 exec, exec, s[16:17]
	s_mov_b32 s18, s95
.LBB0_438:                              ;   in Loop: Header=BB0_347 Depth=4
	s_mov_b32 s95, s18
.LBB0_439:                              ;   in Loop: Header=BB0_347 Depth=4
	s_mov_b32 s22, s95
.LBB0_440:                              ;   in Loop: Header=BB0_347 Depth=4
	s_cmp_eq_u32 s22, 0
	s_cselect_b64 s[14:15], -1, 0
	s_and_b64 vcc, exec, s[14:15]
	s_cbranch_vccnz .LBB0_461
; %bb.441:                              ;   in Loop: Header=BB0_347 Depth=4
	v_mbcnt_lo_u32_b32 v2, exec_lo, 0
	v_mbcnt_hi_u32_b32 v2, exec_hi, v2
	v_cmp_eq_u32_e32 vcc, 0, v2
	s_and_saveexec_b64 s[16:17], vcc
	s_cbranch_execz .LBB0_458
; %bb.442:                              ;   in Loop: Header=BB0_347 Depth=4
	global_load_dwordx2 v[2:3], v[53:54], off glc
	s_memrealtime s[18:19]
	s_waitcnt lgkmcnt(0)
	v_mov_b32_e32 v4, s19
	s_waitcnt vmcnt(0)
	v_sub_co_u32_e32 v6, vcc, s18, v2
	v_subb_co_u32_e32 v7, vcc, v4, v3, vcc
	v_cmp_gt_u64_e32 vcc, s[60:61], v[6:7]
	s_and_b64 exec, exec, vcc
	s_cbranch_execz .LBB0_458
; %bb.443:                              ;   in Loop: Header=BB0_347 Depth=4
	s_memrealtime s[20:21]
	v_readfirstlane_b32 s18, v6
	s_sub_i32 s18, 0x7530, s18
	s_waitcnt lgkmcnt(0)
	s_add_u32 s18, s18, s20
	s_addc_u32 s19, 0, s21
	s_add_u32 s26, s20, 0x659
	s_addc_u32 s27, 0, s21
.LBB0_444:                              ;   Parent Loop BB0_3 Depth=1
                                        ;     Parent Loop BB0_6 Depth=2
                                        ;       Parent Loop BB0_322 Depth=3
                                        ;         Parent Loop BB0_347 Depth=4
                                        ; =>        This Inner Loop Header: Depth=5
	v_mov_b32_e32 v2, s26
	v_mov_b32_e32 v3, s27
	v_cmp_le_u64_e32 vcc, s[18:19], v[2:3]
	s_cbranch_vccnz .LBB0_447
; %bb.445:                              ;   in Loop: Header=BB0_444 Depth=5
	s_sleep 0x7f
	s_memrealtime s[20:21]
	s_waitcnt lgkmcnt(0)
	s_add_u32 s26, s20, 0x659
	s_addc_u32 s27, s21, 0
	s_branch .LBB0_444
.LBB0_446:                              ;   in Loop: Header=BB0_447 Depth=5
	s_sleep 63
	s_memrealtime s[20:21]
.LBB0_447:                              ;   Parent Loop BB0_3 Depth=1
                                        ;     Parent Loop BB0_6 Depth=2
                                        ;       Parent Loop BB0_322 Depth=3
                                        ;         Parent Loop BB0_347 Depth=4
                                        ; =>        This Inner Loop Header: Depth=5
	s_waitcnt lgkmcnt(0)
	s_add_u32 s26, s20, 0x326
	s_addc_u32 s27, s21, 0
	v_mov_b32_e32 v2, s26
	v_mov_b32_e32 v3, s27
	v_cmp_le_u64_e32 vcc, s[18:19], v[2:3]
	s_cbranch_vccz .LBB0_446
; %bb.448:                              ;   in Loop: Header=BB0_347 Depth=4
	s_add_u32 s26, s20, 0x18c
	s_addc_u32 s27, s21, 0
	v_mov_b32_e32 v2, s26
	v_mov_b32_e32 v3, s27
	v_cmp_le_u64_e32 vcc, s[18:19], v[2:3]
	s_cbranch_vccnz .LBB0_451
.LBB0_449:                              ;   Parent Loop BB0_3 Depth=1
                                        ;     Parent Loop BB0_6 Depth=2
                                        ;       Parent Loop BB0_322 Depth=3
                                        ;         Parent Loop BB0_347 Depth=4
                                        ; =>        This Inner Loop Header: Depth=5
	s_sleep 31
	s_memrealtime s[20:21]
	s_waitcnt lgkmcnt(0)
	s_add_u32 s26, s20, 0x18c
	s_addc_u32 s27, s21, 0
	v_mov_b32_e32 v2, s26
	v_mov_b32_e32 v3, s27
	v_cmp_gt_u64_e32 vcc, s[18:19], v[2:3]
	s_cbranch_vccnz .LBB0_449
	s_branch .LBB0_451
.LBB0_450:                              ;   in Loop: Header=BB0_451 Depth=5
	s_sleep 15
	s_memrealtime s[20:21]
.LBB0_451:                              ;   Parent Loop BB0_3 Depth=1
                                        ;     Parent Loop BB0_6 Depth=2
                                        ;       Parent Loop BB0_322 Depth=3
                                        ;         Parent Loop BB0_347 Depth=4
                                        ; =>        This Inner Loop Header: Depth=5
	s_waitcnt lgkmcnt(0)
	s_add_u32 s26, s20, 0xc0
	s_addc_u32 s27, s21, 0
	v_mov_b32_e32 v2, s26
	v_mov_b32_e32 v3, s27
	v_cmp_le_u64_e32 vcc, s[18:19], v[2:3]
	s_cbranch_vccz .LBB0_450
	s_branch .LBB0_453
.LBB0_452:                              ;   in Loop: Header=BB0_453 Depth=5
	s_sleep 7
	s_memrealtime s[20:21]
.LBB0_453:                              ;   Parent Loop BB0_3 Depth=1
                                        ;     Parent Loop BB0_6 Depth=2
                                        ;       Parent Loop BB0_322 Depth=3
                                        ;         Parent Loop BB0_347 Depth=4
                                        ; =>        This Inner Loop Header: Depth=5
	s_waitcnt lgkmcnt(0)
	s_add_u32 s26, s20, 0x59
	s_addc_u32 s27, s21, 0
	v_mov_b32_e32 v2, s26
	v_mov_b32_e32 v3, s27
	v_cmp_le_u64_e32 vcc, s[18:19], v[2:3]
	s_cbranch_vccz .LBB0_452
	;; [unrolled: 16-line block ×3, first 2 shown]
; %bb.456:                              ;   in Loop: Header=BB0_347 Depth=4
	v_mov_b32_e32 v2, s20
	v_mov_b32_e32 v3, s21
	v_cmp_le_u64_e32 vcc, s[18:19], v[2:3]
	s_cbranch_vccnz .LBB0_458
.LBB0_457:                              ;   Parent Loop BB0_3 Depth=1
                                        ;     Parent Loop BB0_6 Depth=2
                                        ;       Parent Loop BB0_322 Depth=3
                                        ;         Parent Loop BB0_347 Depth=4
                                        ; =>        This Inner Loop Header: Depth=5
	s_sleep 1
	s_memrealtime s[20:21]
	s_waitcnt lgkmcnt(0)
	v_mov_b32_e32 v2, s20
	v_mov_b32_e32 v3, s21
	v_cmp_gt_u64_e32 vcc, s[18:19], v[2:3]
	s_cbranch_vccnz .LBB0_457
.LBB0_458:                              ;   in Loop: Header=BB0_347 Depth=4
	s_or_b64 exec, exec, s[16:17]
	s_cmp_lg_u32 s22, 2
	s_cselect_b64 s[16:17], -1, 0
	v_cndmask_b32_e64 v24, 0, 1, s[16:17]
	v_mov_b32_e32 v25, s24
	s_branch .LBB0_461
.LBB0_459:                              ;   in Loop: Header=BB0_347 Depth=4
	v_mov_b32_e32 v24, 0
	v_mov_b32_e32 v25, 0
	s_mov_b64 s[18:19], 0
	s_branch .LBB0_575
.LBB0_460:                              ;   in Loop: Header=BB0_347 Depth=4
	s_mov_b64 s[14:15], -1
.LBB0_461:                              ;   in Loop: Header=BB0_347 Depth=4
	s_mov_b64 s[18:19], 0
	s_and_b64 vcc, exec, s[14:15]
	s_cbranch_vccz .LBB0_575
; %bb.462:                              ;   in Loop: Header=BB0_347 Depth=4
	v_mov_b32_e32 v2, 1
	s_and_saveexec_b64 s[14:15], s[12:13]
	s_cbranch_execz .LBB0_466
; %bb.463:                              ;   in Loop: Header=BB0_347 Depth=4
	global_load_dwordx2 v[21:22], v[38:39], off glc
	s_memrealtime s[18:19]
	s_waitcnt lgkmcnt(0)
	v_mov_b32_e32 v3, s19
	s_waitcnt vmcnt(0)
	v_sub_co_u32_e32 v2, vcc, s18, v21
	v_subb_co_u32_e32 v3, vcc, v3, v22, vcc
	v_cmp_lt_u64_e32 vcc, s[62:63], v[2:3]
	v_mov_b32_e32 v2, 1
	s_and_saveexec_b64 s[16:17], vcc
	s_cbranch_execz .LBB0_465
; %bb.464:                              ;   in Loop: Header=BB0_347 Depth=4
	v_mov_b32_e32 v19, s18
	v_mov_b32_e32 v20, s19
	global_atomic_cmpswap_x2 v[2:3], v[38:39], v[19:22], off glc
	s_waitcnt vmcnt(0)
	v_cmp_ne_u64_e32 vcc, v[2:3], v[21:22]
	v_cndmask_b32_e64 v2, 0, 1, vcc
.LBB0_465:                              ;   in Loop: Header=BB0_347 Depth=4
	s_or_b64 exec, exec, s[16:17]
.LBB0_466:                              ;   in Loop: Header=BB0_347 Depth=4
	s_or_b64 exec, exec, s[14:15]
	v_readfirstlane_b32 s14, v2
	s_mov_b32 s15, s24
	v_mov_b32_e32 v13, s14
	s_mov_b64 s[18:19], 0
	s_cmp_lg_u64 s[14:15], 0
	v_mov_b32_e32 v14, s15
	s_cbranch_scc1 .LBB0_574
; %bb.467:                              ;   in Loop: Header=BB0_347 Depth=4
	v_mov_b32_e32 v13, 0
	v_mov_b32_e32 v6, 0
	;; [unrolled: 1-line block ×4, first 2 shown]
	s_and_saveexec_b64 s[16:17], s[12:13]
	s_cbranch_execz .LBB0_502
; %bb.468:                              ;   in Loop: Header=BB0_347 Depth=4
	global_load_dwordx2 v[2:3], v8, s[46:47] glc
	global_load_dwordx2 v[9:10], v8, s[56:57]
	s_mov_b64 s[14:15], -1
                                        ; implicit-def: $vgpr6_vgpr7
	s_waitcnt vmcnt(0)
	v_cmp_ge_u64_e32 vcc, v[2:3], v[9:10]
	s_cbranch_vccnz .LBB0_472
; %bb.469:                              ;   in Loop: Header=BB0_347 Depth=4
	s_mov_b64 s[18:19], exec
	v_mbcnt_lo_u32_b32 v2, s18, 0
	v_mbcnt_hi_u32_b32 v2, s19, v2
	v_cmp_eq_u32_e32 vcc, 0, v2
                                        ; implicit-def: $vgpr6_vgpr7
	s_and_saveexec_b64 s[14:15], vcc
	s_cbranch_execz .LBB0_471
; %bb.470:                              ;   in Loop: Header=BB0_347 Depth=4
	s_bcnt1_i32_b64 s18, s[18:19]
	s_lshl_b32 s18, s18, 21
	v_mov_b32_e32 v7, s18
	global_atomic_add_x2 v[6:7], v8, v[7:8], s[46:47] glc
.LBB0_471:                              ;   in Loop: Header=BB0_347 Depth=4
	s_or_b64 exec, exec, s[14:15]
	s_waitcnt vmcnt(0)
	v_readfirstlane_b32 s14, v7
	v_readfirstlane_b32 s15, v6
	v_mov_b32_e32 v3, s15
	v_mov_b32_e32 v4, s14
	v_mad_u64_u32 v[6:7], s[14:15], v2, s66, v[3:4]
	v_cmp_ge_u64_e64 s[14:15], v[6:7], v[9:10]
.LBB0_472:                              ;   in Loop: Header=BB0_347 Depth=4
	s_and_saveexec_b64 s[18:19], s[14:15]
	s_cbranch_execz .LBB0_501
; %bb.473:                              ;   in Loop: Header=BB0_347 Depth=4
	s_load_dwordx2 s[20:21], s[8:9], 0x50
	v_readfirstlane_b32 s14, v60
	v_mov_b32_e32 v6, 0
	v_mov_b32_e32 v7, 0
	v_cmp_eq_u32_e64 s[14:15], s14, v60
	s_and_saveexec_b64 s[22:23], s[14:15]
	s_cbranch_execz .LBB0_479
; %bb.474:                              ;   in Loop: Header=BB0_347 Depth=4
	s_waitcnt lgkmcnt(0)
	global_load_dwordx2 v[4:5], v8, s[20:21] offset:24 glc
	s_waitcnt vmcnt(0)
	buffer_wbinvl1_vol
	global_load_dwordx2 v[2:3], v8, s[20:21] offset:40
	global_load_dwordx2 v[6:7], v8, s[20:21]
	s_waitcnt vmcnt(1)
	v_and_b32_e32 v2, v2, v4
	v_and_b32_e32 v3, v3, v5
	v_mul_lo_u32 v3, v3, 24
	v_mul_hi_u32 v9, v2, 24
	v_mul_lo_u32 v2, v2, 24
	v_add_u32_e32 v3, v9, v3
	s_waitcnt vmcnt(0)
	v_add_co_u32_e32 v2, vcc, v6, v2
	v_addc_co_u32_e32 v3, vcc, v7, v3, vcc
	global_load_dwordx2 v[2:3], v[2:3], off glc
	s_waitcnt vmcnt(0)
	global_atomic_cmpswap_x2 v[6:7], v8, v[2:5], s[20:21] offset:24 glc
	s_waitcnt vmcnt(0)
	buffer_wbinvl1_vol
	v_cmp_ne_u64_e32 vcc, v[6:7], v[4:5]
	s_and_saveexec_b64 s[26:27], vcc
	s_cbranch_execz .LBB0_478
; %bb.475:                              ;   in Loop: Header=BB0_347 Depth=4
	s_mov_b64 s[88:89], 0
.LBB0_476:                              ;   Parent Loop BB0_3 Depth=1
                                        ;     Parent Loop BB0_6 Depth=2
                                        ;       Parent Loop BB0_322 Depth=3
                                        ;         Parent Loop BB0_347 Depth=4
                                        ; =>        This Inner Loop Header: Depth=5
	s_sleep 1
	global_load_dwordx2 v[2:3], v8, s[20:21] offset:40
	global_load_dwordx2 v[9:10], v8, s[20:21]
	v_mov_b32_e32 v4, v6
	v_mov_b32_e32 v5, v7
	s_waitcnt vmcnt(1)
	v_and_b32_e32 v2, v2, v4
	s_waitcnt vmcnt(0)
	v_mad_u64_u32 v[6:7], s[90:91], v2, 24, v[9:10]
	v_and_b32_e32 v3, v3, v5
	v_mov_b32_e32 v2, v7
	v_mad_u64_u32 v[2:3], s[90:91], v3, 24, v[2:3]
	v_mov_b32_e32 v7, v2
	global_load_dwordx2 v[2:3], v[6:7], off glc
	s_waitcnt vmcnt(0)
	global_atomic_cmpswap_x2 v[6:7], v8, v[2:5], s[20:21] offset:24 glc
	s_waitcnt vmcnt(0)
	buffer_wbinvl1_vol
	v_cmp_eq_u64_e32 vcc, v[6:7], v[4:5]
	s_or_b64 s[88:89], vcc, s[88:89]
	s_andn2_b64 exec, exec, s[88:89]
	s_cbranch_execnz .LBB0_476
; %bb.477:                              ;   in Loop: Header=BB0_347 Depth=4
	s_or_b64 exec, exec, s[88:89]
.LBB0_478:                              ;   in Loop: Header=BB0_347 Depth=4
	s_or_b64 exec, exec, s[26:27]
.LBB0_479:                              ;   in Loop: Header=BB0_347 Depth=4
	s_or_b64 exec, exec, s[22:23]
	s_waitcnt lgkmcnt(0)
	global_load_dwordx2 v[2:3], v8, s[20:21] offset:40
	global_load_dwordx4 v[20:23], v8, s[20:21]
	v_readfirstlane_b32 s23, v7
	v_readfirstlane_b32 s22, v6
	s_mov_b64 s[26:27], exec
	s_waitcnt vmcnt(1)
	v_readfirstlane_b32 s88, v2
	v_readfirstlane_b32 s89, v3
	s_and_b64 s[88:89], s[88:89], s[22:23]
	s_mul_i32 s25, s89, 24
	s_mul_hi_u32 s90, s88, 24
	s_mul_i32 s91, s88, 24
	s_add_i32 s25, s90, s25
	v_mov_b32_e32 v2, s25
	s_waitcnt vmcnt(0)
	v_add_co_u32_e32 v26, vcc, s91, v20
	v_addc_co_u32_e32 v27, vcc, v21, v2, vcc
	s_and_saveexec_b64 s[90:91], s[14:15]
	s_cbranch_execz .LBB0_481
; %bb.480:                              ;   in Loop: Header=BB0_347 Depth=4
	v_mov_b32_e32 v9, s26
	v_mov_b32_e32 v10, s27
	global_store_dwordx4 v[26:27], v[9:12], off offset:8
.LBB0_481:                              ;   in Loop: Header=BB0_347 Depth=4
	s_or_b64 exec, exec, s[90:91]
	s_lshl_b64 s[26:27], s[88:89], 12
	v_mov_b32_e32 v2, s27
	v_add_co_u32_e32 v49, vcc, s26, v22
	v_addc_co_u32_e32 v2, vcc, v23, v2, vcc
	s_mov_b32 s25, s24
	s_mov_b32 s26, s24
	;; [unrolled: 1-line block ×3, first 2 shown]
	v_mov_b32_e32 v4, s24
	v_lshlrev_b32_e32 v3, 6, v60
	v_mov_b32_e32 v16, v8
	v_mov_b32_e32 v17, v8
	v_mov_b32_e32 v19, v8
	v_readfirstlane_b32 s88, v49
	v_readfirstlane_b32 s89, v2
	v_mov_b32_e32 v5, s25
	v_mov_b32_e32 v6, s26
	;; [unrolled: 1-line block ×3, first 2 shown]
	s_nop 1
	global_store_dwordx4 v3, v[16:19], s[88:89]
	global_store_dwordx4 v3, v[4:7], s[88:89] offset:16
	global_store_dwordx4 v3, v[4:7], s[88:89] offset:32
	;; [unrolled: 1-line block ×3, first 2 shown]
	s_and_saveexec_b64 s[26:27], s[14:15]
	s_cbranch_execz .LBB0_489
; %bb.482:                              ;   in Loop: Header=BB0_347 Depth=4
	global_load_dwordx2 v[42:43], v8, s[20:21] offset:32 glc
	global_load_dwordx2 v[4:5], v8, s[20:21] offset:40
	v_mov_b32_e32 v40, s22
	v_mov_b32_e32 v41, s23
	s_waitcnt vmcnt(0)
	v_and_b32_e32 v4, s22, v4
	v_and_b32_e32 v5, s23, v5
	v_mul_lo_u32 v5, v5, 24
	v_mul_hi_u32 v6, v4, 24
	v_mul_lo_u32 v4, v4, 24
	v_add_u32_e32 v5, v6, v5
	v_add_co_u32_e32 v6, vcc, v20, v4
	v_addc_co_u32_e32 v7, vcc, v21, v5, vcc
	global_store_dwordx2 v[6:7], v[42:43], off
	s_waitcnt vmcnt(0)
	global_atomic_cmpswap_x2 v[21:22], v8, v[40:43], s[20:21] offset:32 glc
	s_waitcnt vmcnt(0)
	v_cmp_ne_u64_e32 vcc, v[21:22], v[42:43]
	s_and_saveexec_b64 s[88:89], vcc
	s_cbranch_execz .LBB0_485
; %bb.483:                              ;   in Loop: Header=BB0_347 Depth=4
	s_mov_b64 s[90:91], 0
.LBB0_484:                              ;   Parent Loop BB0_3 Depth=1
                                        ;     Parent Loop BB0_6 Depth=2
                                        ;       Parent Loop BB0_322 Depth=3
                                        ;         Parent Loop BB0_347 Depth=4
                                        ; =>        This Inner Loop Header: Depth=5
	s_sleep 1
	global_store_dwordx2 v[6:7], v[21:22], off
	v_mov_b32_e32 v19, s22
	v_mov_b32_e32 v20, s23
	s_waitcnt vmcnt(0)
	global_atomic_cmpswap_x2 v[4:5], v8, v[19:22], s[20:21] offset:32 glc
	s_waitcnt vmcnt(0)
	v_cmp_eq_u64_e32 vcc, v[4:5], v[21:22]
	v_mov_b32_e32 v22, v5
	s_or_b64 s[90:91], vcc, s[90:91]
	v_mov_b32_e32 v21, v4
	s_andn2_b64 exec, exec, s[90:91]
	s_cbranch_execnz .LBB0_484
.LBB0_485:                              ;   in Loop: Header=BB0_347 Depth=4
	s_or_b64 exec, exec, s[88:89]
	global_load_dwordx2 v[9:10], v8, s[20:21] offset:16
	s_mov_b64 s[90:91], exec
	v_mbcnt_lo_u32_b32 v4, s90, 0
	v_mbcnt_hi_u32_b32 v4, s91, v4
	v_cmp_eq_u32_e32 vcc, 0, v4
	s_and_saveexec_b64 s[88:89], vcc
	s_cbranch_execz .LBB0_487
; %bb.486:                              ;   in Loop: Header=BB0_347 Depth=4
	s_bcnt1_i32_b64 s25, s[90:91]
	v_mov_b32_e32 v7, s25
	s_waitcnt vmcnt(0)
	global_atomic_add_x2 v[9:10], v[7:8], off offset:8
.LBB0_487:                              ;   in Loop: Header=BB0_347 Depth=4
	s_or_b64 exec, exec, s[88:89]
	s_waitcnt vmcnt(0)
	global_load_dwordx2 v[16:17], v[9:10], off offset:16
	s_waitcnt vmcnt(0)
	v_cmp_eq_u64_e32 vcc, 0, v[16:17]
	s_cbranch_vccnz .LBB0_489
; %bb.488:                              ;   in Loop: Header=BB0_347 Depth=4
	global_load_dword v7, v[9:10], off offset:24
	s_waitcnt vmcnt(0)
	v_readfirstlane_b32 s25, v7
	s_and_b32 m0, s25, 0xffffff
	global_store_dwordx2 v[16:17], v[7:8], off
	s_sendmsg sendmsg(MSG_INTERRUPT)
.LBB0_489:                              ;   in Loop: Header=BB0_347 Depth=4
	s_or_b64 exec, exec, s[26:27]
	v_add_co_u32_e32 v6, vcc, v49, v3
	v_addc_co_u32_e32 v7, vcc, 0, v2, vcc
.LBB0_490:                              ;   Parent Loop BB0_3 Depth=1
                                        ;     Parent Loop BB0_6 Depth=2
                                        ;       Parent Loop BB0_322 Depth=3
                                        ;         Parent Loop BB0_347 Depth=4
                                        ; =>        This Inner Loop Header: Depth=5
	v_mov_b32_e32 v2, 1
	s_and_saveexec_b64 s[26:27], s[14:15]
	s_cbranch_execz .LBB0_492
; %bb.491:                              ;   in Loop: Header=BB0_490 Depth=5
	global_load_dword v2, v[26:27], off offset:20 glc
	s_waitcnt vmcnt(0)
	buffer_wbinvl1_vol
	v_and_b32_e32 v2, 1, v2
.LBB0_492:                              ;   in Loop: Header=BB0_490 Depth=5
	s_or_b64 exec, exec, s[26:27]
	v_readfirstlane_b32 s25, v2
	s_cmp_eq_u32 s25, 0
	s_cbranch_scc1 .LBB0_494
; %bb.493:                              ;   in Loop: Header=BB0_490 Depth=5
	s_mov_b64 s[26:27], 0
	s_sleep 1
	s_branch .LBB0_495
.LBB0_494:                              ;   in Loop: Header=BB0_490 Depth=5
	s_mov_b64 s[26:27], -1
.LBB0_495:                              ;   in Loop: Header=BB0_490 Depth=5
	s_andn2_b64 vcc, exec, s[26:27]
	s_cbranch_vccnz .LBB0_490
; %bb.496:                              ;   in Loop: Header=BB0_347 Depth=4
	global_load_dwordx2 v[6:7], v[6:7], off
	s_and_saveexec_b64 s[26:27], s[14:15]
	s_cbranch_execz .LBB0_500
; %bb.497:                              ;   in Loop: Header=BB0_347 Depth=4
	global_load_dwordx2 v[2:3], v8, s[20:21] offset:40
	global_load_dwordx2 v[4:5], v8, s[20:21] offset:24 glc
	global_load_dwordx2 v[9:10], v8, s[20:21]
	s_waitcnt vmcnt(2)
	v_readfirstlane_b32 s88, v2
	v_readfirstlane_b32 s89, v3
	s_add_u32 s25, s88, 1
	s_addc_u32 s90, s89, 0
	s_add_u32 s14, s25, s22
	s_addc_u32 s15, s90, s23
	s_cmp_eq_u64 s[14:15], 0
	s_cselect_b32 s15, s90, s15
	s_cselect_b32 s14, s25, s14
	s_and_b64 s[22:23], s[14:15], s[88:89]
	s_mul_i32 s23, s23, 24
	s_mul_hi_u32 s25, s22, 24
	s_mul_i32 s22, s22, 24
	s_add_i32 s23, s25, s23
	v_mov_b32_e32 v3, s23
	s_waitcnt vmcnt(0)
	v_add_co_u32_e32 v9, vcc, s22, v9
	v_addc_co_u32_e32 v10, vcc, v10, v3, vcc
	v_mov_b32_e32 v2, s14
	global_store_dwordx2 v[9:10], v[4:5], off
	v_mov_b32_e32 v3, s15
	s_waitcnt vmcnt(0)
	global_atomic_cmpswap_x2 v[21:22], v8, v[2:5], s[20:21] offset:24 glc
	s_waitcnt vmcnt(0)
	v_cmp_ne_u64_e32 vcc, v[21:22], v[4:5]
	s_and_b64 exec, exec, vcc
	s_cbranch_execz .LBB0_500
; %bb.498:                              ;   in Loop: Header=BB0_347 Depth=4
	s_mov_b64 s[22:23], 0
.LBB0_499:                              ;   Parent Loop BB0_3 Depth=1
                                        ;     Parent Loop BB0_6 Depth=2
                                        ;       Parent Loop BB0_322 Depth=3
                                        ;         Parent Loop BB0_347 Depth=4
                                        ; =>        This Inner Loop Header: Depth=5
	s_sleep 1
	global_store_dwordx2 v[9:10], v[21:22], off
	v_mov_b32_e32 v19, s14
	v_mov_b32_e32 v20, s15
	s_waitcnt vmcnt(0)
	global_atomic_cmpswap_x2 v[2:3], v8, v[19:22], s[20:21] offset:24 glc
	s_waitcnt vmcnt(0)
	v_cmp_eq_u64_e32 vcc, v[2:3], v[21:22]
	v_mov_b32_e32 v22, v3
	s_or_b64 s[22:23], vcc, s[22:23]
	v_mov_b32_e32 v21, v2
	s_andn2_b64 exec, exec, s[22:23]
	s_cbranch_execnz .LBB0_499
.LBB0_500:                              ;   in Loop: Header=BB0_347 Depth=4
	s_or_b64 exec, exec, s[26:27]
.LBB0_501:                              ;   in Loop: Header=BB0_347 Depth=4
	s_or_b64 exec, exec, s[18:19]
.LBB0_502:                              ;   in Loop: Header=BB0_347 Depth=4
	s_or_b64 exec, exec, s[16:17]
	s_waitcnt vmcnt(0)
	v_readfirstlane_b32 s16, v6
	v_readfirstlane_b32 s17, v7
	s_cmp_eq_u64 s[16:17], 0
	s_cbranch_scc1 .LBB0_573
; %bb.503:                              ;   in Loop: Header=BB0_347 Depth=4
	global_load_dword v9, v[44:45], off
	v_mbcnt_lo_u32_b32 v2, exec_lo, 0
	v_mbcnt_hi_u32_b32 v13, exec_hi, v2
	s_bcnt1_i32_b64 s25, exec
	s_waitcnt vmcnt(0)
	v_add_u32_e32 v2, 31, v9
	v_lshrrev_b32_e32 v10, 5, v2
	s_and_saveexec_b64 s[14:15], s[4:5]
	s_xor_b64 s[18:19], exec, s[14:15]
	s_cbranch_execz .LBB0_511
; %bb.504:                              ;   in Loop: Header=BB0_347 Depth=4
	global_load_dword v2, v[44:45], off offset:20
	v_cmp_lt_u32_e32 vcc, v13, v10
	s_and_saveexec_b64 s[20:21], vcc
	s_cbranch_execz .LBB0_507
; %bb.505:                              ;   in Loop: Header=BB0_347 Depth=4
	v_lshlrev_b32_e32 v3, 2, v13
	v_mov_b32_e32 v4, s17
	v_add_co_u32_e32 v3, vcc, s16, v3
	v_addc_co_u32_e32 v4, vcc, 0, v4, vcc
	v_add_co_u32_e32 v6, vcc, 16, v3
	v_addc_co_u32_e32 v7, vcc, 0, v4, vcc
	s_lshl_b32 s26, s25, 2
	s_mov_b64 s[22:23], 0
	v_mov_b32_e32 v3, v13
.LBB0_506:                              ;   Parent Loop BB0_3 Depth=1
                                        ;     Parent Loop BB0_6 Depth=2
                                        ;       Parent Loop BB0_322 Depth=3
                                        ;         Parent Loop BB0_347 Depth=4
                                        ; =>        This Inner Loop Header: Depth=5
	v_add_u32_e32 v3, s25, v3
	global_store_dword v[6:7], v8, off
	v_add_co_u32_e32 v6, vcc, s26, v6
	v_cmp_ge_u32_e64 s[14:15], v3, v10
	s_or_b64 s[22:23], s[14:15], s[22:23]
	v_addc_co_u32_e32 v7, vcc, 0, v7, vcc
	s_andn2_b64 exec, exec, s[22:23]
	s_cbranch_execnz .LBB0_506
.LBB0_507:                              ;   in Loop: Header=BB0_347 Depth=4
	s_or_b64 exec, exec, s[20:21]
	global_load_dword v3, v[44:45], off offset:16
	s_waitcnt vmcnt(0)
	v_mad_u64_u32 v[6:7], s[14:15], v2, v13, v[3:4]
	v_cmp_lt_u32_e32 vcc, v6, v9
	s_and_saveexec_b64 s[14:15], vcc
	s_cbranch_execz .LBB0_510
; %bb.508:                              ;   in Loop: Header=BB0_347 Depth=4
	v_mul_lo_u32 v2, v2, s25
	s_mov_b64 s[20:21], 0
.LBB0_509:                              ;   Parent Loop BB0_3 Depth=1
                                        ;     Parent Loop BB0_6 Depth=2
                                        ;       Parent Loop BB0_322 Depth=3
                                        ;         Parent Loop BB0_347 Depth=4
                                        ; =>        This Inner Loop Header: Depth=5
	v_lshlrev_b32_e64 v3, v6, 1
	v_lshrrev_b32_e32 v4, 3, v6
	v_add_u32_e32 v6, v6, v2
	v_cmp_ge_u32_e32 vcc, v6, v9
	v_and_b32_e32 v4, 0x1ffffffc, v4
	s_or_b64 s[20:21], vcc, s[20:21]
	global_store_dword v4, v3, s[16:17] offset:16
	s_andn2_b64 exec, exec, s[20:21]
	s_cbranch_execnz .LBB0_509
.LBB0_510:                              ;   in Loop: Header=BB0_347 Depth=4
	s_or_b64 exec, exec, s[14:15]
.LBB0_511:                              ;   in Loop: Header=BB0_347 Depth=4
	s_andn2_saveexec_b64 s[18:19], s[18:19]
	s_cbranch_execz .LBB0_516
; %bb.512:                              ;   in Loop: Header=BB0_347 Depth=4
	v_cmp_lt_u32_e32 vcc, v13, v10
	s_and_saveexec_b64 s[20:21], vcc
	s_cbranch_execz .LBB0_515
; %bb.513:                              ;   in Loop: Header=BB0_347 Depth=4
	global_load_dword v2, v[44:45], off offset:24
	v_lshlrev_b32_e32 v3, 2, v13
	v_mov_b32_e32 v4, s17
	v_add_co_u32_e32 v3, vcc, s16, v3
	v_addc_co_u32_e32 v4, vcc, 0, v4, vcc
	v_add_co_u32_e32 v6, vcc, 16, v3
	v_addc_co_u32_e32 v7, vcc, 0, v4, vcc
	s_lshl_b32 s26, s25, 2
	s_mov_b64 s[22:23], 0
	v_mov_b32_e32 v3, v13
	s_waitcnt vmcnt(0)
.LBB0_514:                              ;   Parent Loop BB0_3 Depth=1
                                        ;     Parent Loop BB0_6 Depth=2
                                        ;       Parent Loop BB0_322 Depth=3
                                        ;         Parent Loop BB0_347 Depth=4
                                        ; =>        This Inner Loop Header: Depth=5
	v_add_u32_e32 v3, s25, v3
	global_store_dword v[6:7], v2, off
	v_add_co_u32_e32 v6, vcc, s26, v6
	v_cmp_ge_u32_e64 s[14:15], v3, v10
	s_or_b64 s[22:23], s[14:15], s[22:23]
	v_addc_co_u32_e32 v7, vcc, 0, v7, vcc
	s_andn2_b64 exec, exec, s[22:23]
	s_cbranch_execnz .LBB0_514
.LBB0_515:                              ;   in Loop: Header=BB0_347 Depth=4
	s_or_b64 exec, exec, s[20:21]
.LBB0_516:                              ;   in Loop: Header=BB0_347 Depth=4
	s_or_b64 exec, exec, s[18:19]
	v_cmp_eq_u32_e32 vcc, 0, v13
	s_and_saveexec_b64 s[14:15], vcc
	s_cbranch_execz .LBB0_520
; %bb.517:                              ;   in Loop: Header=BB0_347 Depth=4
	s_and_saveexec_b64 s[18:19], s[6:7]
	s_cbranch_execz .LBB0_519
; %bb.518:                              ;   in Loop: Header=BB0_347 Depth=4
	v_add_u32_e32 v7, -1, v10
	v_lshlrev_b64 v[2:3], 2, v[7:8]
	v_mov_b32_e32 v4, s17
	v_add_co_u32_e32 v2, vcc, s16, v2
	v_addc_co_u32_e32 v3, vcc, v4, v3, vcc
	global_load_dword v4, v[2:3], off offset:16
	s_waitcnt vmcnt(0)
	v_lshl_or_b32 v4, -1, v9, v4
	global_store_dword v[2:3], v4, off offset:16
.LBB0_519:                              ;   in Loop: Header=BB0_347 Depth=4
	s_or_b64 exec, exec, s[18:19]
	global_store_dwordx4 v8, v[32:35], s[16:17]
.LBB0_520:                              ;   in Loop: Header=BB0_347 Depth=4
	s_or_b64 exec, exec, s[14:15]
.LBB0_521:                              ;   Parent Loop BB0_3 Depth=1
                                        ;     Parent Loop BB0_6 Depth=2
                                        ;       Parent Loop BB0_322 Depth=3
                                        ;         Parent Loop BB0_347 Depth=4
                                        ; =>        This Inner Loop Header: Depth=5
	v_mov_b32_e32 v2, s93
	s_and_saveexec_b64 s[14:15], s[12:13]
	s_cbranch_execz .LBB0_523
; %bb.522:                              ;   in Loop: Header=BB0_521 Depth=5
	global_load_dword v2, v[28:29], off offset:2048 glc
.LBB0_523:                              ;   in Loop: Header=BB0_521 Depth=5
	s_or_b64 exec, exec, s[14:15]
	s_waitcnt vmcnt(0)
	v_readfirstlane_b32 s93, v2
	s_cmp_eq_u32 s93, 0x10100
	s_cbranch_scc1 .LBB0_537
; %bb.524:                              ;   in Loop: Header=BB0_521 Depth=5
	v_mov_b32_e32 v2, s94
	s_and_saveexec_b64 s[14:15], s[12:13]
	s_cbranch_execz .LBB0_526
; %bb.525:                              ;   in Loop: Header=BB0_521 Depth=5
	global_load_dword v2, v[30:31], off glc
.LBB0_526:                              ;   in Loop: Header=BB0_521 Depth=5
	s_or_b64 exec, exec, s[14:15]
	s_waitcnt vmcnt(0)
	v_readfirstlane_b32 s94, v2
	s_mov_b64 s[18:19], -1
	s_cmp_lg_u32 s93, s94
	s_mov_b64 s[20:21], -1
                                        ; implicit-def: $sgpr14_sgpr15
	s_cbranch_scc0 .LBB0_536
; %bb.527:                              ;   in Loop: Header=BB0_521 Depth=5
	v_mov_b32_e32 v2, 0
	v_mov_b32_e32 v3, 0
	s_and_saveexec_b64 s[14:15], s[12:13]
	s_cbranch_execz .LBB0_533
; %bb.528:                              ;   in Loop: Header=BB0_521 Depth=5
	v_mov_b32_e32 v6, v36
	s_cmpk_lt_u32 s93, 0x100
	s_mov_b32 s18, s93
	v_mov_b32_e32 v7, v37
	s_cbranch_scc1 .LBB0_530
; %bb.529:                              ;   in Loop: Header=BB0_521 Depth=5
	s_add_i32 s18, s93, 0xffffff00
	s_lshr_b32 s18, s18, 8
	v_mad_u64_u32 v[2:3], s[18:19], s18, 24, v[36:37]
	s_and_b32 s18, s93, 0xff
	global_load_dwordx2 v[6:7], v[2:3], off glc
.LBB0_530:                              ;   in Loop: Header=BB0_521 Depth=5
	s_waitcnt vmcnt(0)
	v_mad_u64_u32 v[13:14], s[18:19], s18, 24, v[6:7]
	v_mov_b32_e32 v2, s93
	global_store_dword v8, v2, s[16:17] offset:4
	v_mov_b32_e32 v6, s16
	v_mov_b32_e32 v7, s17
	v_mov_b32_e32 v9, v8
	global_atomic_cmpswap_x2 v[2:3], v[13:14], v[6:9], off offset:8 glc
	s_waitcnt vmcnt(0)
	v_cmp_eq_u64_e32 vcc, 0, v[2:3]
	v_mov_b32_e32 v2, 0
	v_mov_b32_e32 v3, 0
	s_and_saveexec_b64 s[18:19], vcc
	s_cbranch_execz .LBB0_532
; %bb.531:                              ;   in Loop: Header=BB0_521 Depth=5
	global_atomic_add v[28:29], v12, off offset:2048
	v_mov_b32_e32 v2, v14
	v_mov_b32_e32 v3, v13
.LBB0_532:                              ;   in Loop: Header=BB0_521 Depth=5
	s_or_b64 exec, exec, s[18:19]
.LBB0_533:                              ;   in Loop: Header=BB0_521 Depth=5
	s_or_b64 exec, exec, s[14:15]
	v_readfirstlane_b32 s14, v3
	v_readfirstlane_b32 s15, v2
	s_cmp_lg_u64 s[14:15], 0
	s_cbranch_scc1 .LBB0_535
; %bb.534:                              ;   in Loop: Header=BB0_521 Depth=5
	s_mov_b64 s[20:21], 0
	s_sleep 2
.LBB0_535:                              ;   in Loop: Header=BB0_521 Depth=5
	s_mov_b64 s[18:19], 0
.LBB0_536:                              ;   in Loop: Header=BB0_521 Depth=5
	s_mov_b64 s[22:23], 0
	s_branch .LBB0_538
.LBB0_537:                              ;   in Loop: Header=BB0_521 Depth=5
	s_mov_b64 s[22:23], -1
	s_mov_b64 s[18:19], 0
                                        ; implicit-def: $sgpr94
                                        ; implicit-def: $sgpr14_sgpr15
	s_mov_b64 s[20:21], -1
.LBB0_538:                              ;   in Loop: Header=BB0_521 Depth=5
	s_and_b64 vcc, exec, s[20:21]
	s_cbranch_vccz .LBB0_521
; %bb.539:                              ;   in Loop: Header=BB0_347 Depth=4
	s_and_b64 vcc, exec, s[22:23]
	s_cbranch_vccnz .LBB0_572
; %bb.540:                              ;   in Loop: Header=BB0_347 Depth=4
	s_xor_b64 s[18:19], s[18:19], -1
	s_mov_b64 s[20:21], -1
	s_and_b64 vcc, exec, s[18:19]
	s_cbranch_vccz .LBB0_542
; %bb.541:                              ;   in Loop: Header=BB0_347 Depth=4
	s_mov_b64 s[20:21], 0
.LBB0_542:                              ;   in Loop: Header=BB0_347 Depth=4
	v_mov_b32_e32 v13, s14
	s_mov_b64 s[18:19], 0
	s_andn2_b64 vcc, exec, s[20:21]
	v_mov_b32_e32 v14, s15
	s_cbranch_vccnz .LBB0_574
; %bb.543:                              ;   in Loop: Header=BB0_347 Depth=4
	s_and_saveexec_b64 s[18:19], s[12:13]
	s_cbranch_execz .LBB0_571
; %bb.544:                              ;   in Loop: Header=BB0_347 Depth=4
	s_load_dwordx2 s[20:21], s[8:9], 0x50
	v_readfirstlane_b32 s14, v60
	v_mov_b32_e32 v6, 0
	v_mov_b32_e32 v7, 0
	v_cmp_eq_u32_e64 s[14:15], s14, v60
	s_and_saveexec_b64 s[22:23], s[14:15]
	s_cbranch_execz .LBB0_550
; %bb.545:                              ;   in Loop: Header=BB0_347 Depth=4
	s_waitcnt lgkmcnt(0)
	global_load_dwordx2 v[4:5], v8, s[20:21] offset:24 glc
	s_waitcnt vmcnt(0)
	buffer_wbinvl1_vol
	global_load_dwordx2 v[2:3], v8, s[20:21] offset:40
	global_load_dwordx2 v[6:7], v8, s[20:21]
	s_waitcnt vmcnt(1)
	v_and_b32_e32 v2, v2, v4
	v_and_b32_e32 v3, v3, v5
	v_mul_lo_u32 v3, v3, 24
	v_mul_hi_u32 v9, v2, 24
	v_mul_lo_u32 v2, v2, 24
	v_add_u32_e32 v3, v9, v3
	s_waitcnt vmcnt(0)
	v_add_co_u32_e32 v2, vcc, v6, v2
	v_addc_co_u32_e32 v3, vcc, v7, v3, vcc
	global_load_dwordx2 v[2:3], v[2:3], off glc
	s_waitcnt vmcnt(0)
	global_atomic_cmpswap_x2 v[6:7], v8, v[2:5], s[20:21] offset:24 glc
	s_waitcnt vmcnt(0)
	buffer_wbinvl1_vol
	v_cmp_ne_u64_e32 vcc, v[6:7], v[4:5]
	s_and_saveexec_b64 s[26:27], vcc
	s_cbranch_execz .LBB0_549
; %bb.546:                              ;   in Loop: Header=BB0_347 Depth=4
	s_mov_b64 s[88:89], 0
.LBB0_547:                              ;   Parent Loop BB0_3 Depth=1
                                        ;     Parent Loop BB0_6 Depth=2
                                        ;       Parent Loop BB0_322 Depth=3
                                        ;         Parent Loop BB0_347 Depth=4
                                        ; =>        This Inner Loop Header: Depth=5
	s_sleep 1
	global_load_dwordx2 v[2:3], v8, s[20:21] offset:40
	global_load_dwordx2 v[9:10], v8, s[20:21]
	v_mov_b32_e32 v4, v6
	v_mov_b32_e32 v5, v7
	s_waitcnt vmcnt(1)
	v_and_b32_e32 v2, v2, v4
	s_waitcnt vmcnt(0)
	v_mad_u64_u32 v[6:7], s[90:91], v2, 24, v[9:10]
	v_and_b32_e32 v3, v3, v5
	v_mov_b32_e32 v2, v7
	v_mad_u64_u32 v[2:3], s[90:91], v3, 24, v[2:3]
	v_mov_b32_e32 v7, v2
	global_load_dwordx2 v[2:3], v[6:7], off glc
	s_waitcnt vmcnt(0)
	global_atomic_cmpswap_x2 v[6:7], v8, v[2:5], s[20:21] offset:24 glc
	s_waitcnt vmcnt(0)
	buffer_wbinvl1_vol
	v_cmp_eq_u64_e32 vcc, v[6:7], v[4:5]
	s_or_b64 s[88:89], vcc, s[88:89]
	s_andn2_b64 exec, exec, s[88:89]
	s_cbranch_execnz .LBB0_547
; %bb.548:                              ;   in Loop: Header=BB0_347 Depth=4
	s_or_b64 exec, exec, s[88:89]
.LBB0_549:                              ;   in Loop: Header=BB0_347 Depth=4
	s_or_b64 exec, exec, s[26:27]
.LBB0_550:                              ;   in Loop: Header=BB0_347 Depth=4
	s_or_b64 exec, exec, s[22:23]
	s_waitcnt lgkmcnt(0)
	global_load_dwordx2 v[2:3], v8, s[20:21] offset:40
	global_load_dwordx4 v[19:22], v8, s[20:21]
	v_readfirstlane_b32 s23, v7
	v_readfirstlane_b32 s22, v6
	s_mov_b64 s[26:27], exec
	s_waitcnt vmcnt(1)
	v_readfirstlane_b32 s88, v2
	v_readfirstlane_b32 s89, v3
	s_and_b64 s[88:89], s[88:89], s[22:23]
	s_mul_i32 s25, s89, 24
	s_mul_hi_u32 s90, s88, 24
	s_mul_i32 s91, s88, 24
	s_add_i32 s25, s90, s25
	v_mov_b32_e32 v2, s25
	s_waitcnt vmcnt(0)
	v_add_co_u32_e32 v13, vcc, s91, v19
	v_addc_co_u32_e32 v14, vcc, v20, v2, vcc
	s_and_saveexec_b64 s[90:91], s[14:15]
	s_cbranch_execz .LBB0_552
; %bb.551:                              ;   in Loop: Header=BB0_347 Depth=4
	v_mov_b32_e32 v9, s26
	v_mov_b32_e32 v10, s27
	global_store_dwordx4 v[13:14], v[9:12], off offset:8
.LBB0_552:                              ;   in Loop: Header=BB0_347 Depth=4
	s_or_b64 exec, exec, s[90:91]
	s_lshl_b64 s[26:27], s[88:89], 12
	v_mov_b32_e32 v2, s27
	v_add_co_u32_e32 v4, vcc, s26, v21
	v_addc_co_u32_e32 v5, vcc, v22, v2, vcc
	v_mov_b32_e32 v2, s16
	v_lshlrev_b32_e32 v6, 6, v60
	v_mov_b32_e32 v3, s17
	v_readfirstlane_b32 s16, v4
	v_readfirstlane_b32 s17, v5
	s_mov_b32 s25, s24
	s_mov_b32 s26, s24
	;; [unrolled: 1-line block ×3, first 2 shown]
	v_mov_b32_e32 v9, v8
	s_nop 0
	global_store_dwordx2 v6, v[2:3], s[16:17]
	v_mov_b32_e32 v2, s24
	v_mov_b32_e32 v3, s25
	v_mov_b32_e32 v4, s26
	v_mov_b32_e32 v5, s27
	global_store_dwordx4 v6, v[2:5], s[16:17] offset:8
	global_store_dwordx4 v6, v[2:5], s[16:17] offset:24
	;; [unrolled: 1-line block ×3, first 2 shown]
	global_store_dwordx2 v6, v[8:9], s[16:17] offset:56
	s_and_saveexec_b64 s[16:17], s[14:15]
	s_cbranch_execz .LBB0_560
; %bb.553:                              ;   in Loop: Header=BB0_347 Depth=4
	global_load_dwordx2 v[4:5], v8, s[20:21] offset:32 glc
	global_load_dwordx2 v[2:3], v8, s[20:21] offset:40
	s_waitcnt vmcnt(0)
	v_and_b32_e32 v2, s22, v2
	v_and_b32_e32 v3, s23, v3
	v_mul_lo_u32 v3, v3, 24
	v_mul_hi_u32 v6, v2, 24
	v_mul_lo_u32 v7, v2, 24
	v_mov_b32_e32 v2, s22
	v_add_u32_e32 v3, v6, v3
	v_add_co_u32_e32 v6, vcc, v19, v7
	v_addc_co_u32_e32 v7, vcc, v20, v3, vcc
	global_store_dwordx2 v[6:7], v[4:5], off
	v_mov_b32_e32 v3, s23
	s_waitcnt vmcnt(0)
	global_atomic_cmpswap_x2 v[21:22], v8, v[2:5], s[20:21] offset:32 glc
	s_waitcnt vmcnt(0)
	v_cmp_ne_u64_e32 vcc, v[21:22], v[4:5]
	s_and_saveexec_b64 s[26:27], vcc
	s_cbranch_execz .LBB0_556
; %bb.554:                              ;   in Loop: Header=BB0_347 Depth=4
	s_mov_b64 s[88:89], 0
.LBB0_555:                              ;   Parent Loop BB0_3 Depth=1
                                        ;     Parent Loop BB0_6 Depth=2
                                        ;       Parent Loop BB0_322 Depth=3
                                        ;         Parent Loop BB0_347 Depth=4
                                        ; =>        This Inner Loop Header: Depth=5
	s_sleep 1
	global_store_dwordx2 v[6:7], v[21:22], off
	v_mov_b32_e32 v19, s22
	v_mov_b32_e32 v20, s23
	s_waitcnt vmcnt(0)
	global_atomic_cmpswap_x2 v[2:3], v8, v[19:22], s[20:21] offset:32 glc
	s_waitcnt vmcnt(0)
	v_cmp_eq_u64_e32 vcc, v[2:3], v[21:22]
	v_mov_b32_e32 v22, v3
	s_or_b64 s[88:89], vcc, s[88:89]
	v_mov_b32_e32 v21, v2
	s_andn2_b64 exec, exec, s[88:89]
	s_cbranch_execnz .LBB0_555
.LBB0_556:                              ;   in Loop: Header=BB0_347 Depth=4
	s_or_b64 exec, exec, s[26:27]
	global_load_dwordx2 v[9:10], v8, s[20:21] offset:16
	s_mov_b64 s[88:89], exec
	v_mbcnt_lo_u32_b32 v2, s88, 0
	v_mbcnt_hi_u32_b32 v2, s89, v2
	v_cmp_eq_u32_e32 vcc, 0, v2
	s_and_saveexec_b64 s[26:27], vcc
	s_cbranch_execz .LBB0_558
; %bb.557:                              ;   in Loop: Header=BB0_347 Depth=4
	s_bcnt1_i32_b64 s25, s[88:89]
	v_mov_b32_e32 v7, s25
	s_waitcnt vmcnt(0)
	global_atomic_add_x2 v[9:10], v[7:8], off offset:8
.LBB0_558:                              ;   in Loop: Header=BB0_347 Depth=4
	s_or_b64 exec, exec, s[26:27]
	s_waitcnt vmcnt(0)
	global_load_dwordx2 v[16:17], v[9:10], off offset:16
	s_waitcnt vmcnt(0)
	v_cmp_eq_u64_e32 vcc, 0, v[16:17]
	s_cbranch_vccnz .LBB0_560
; %bb.559:                              ;   in Loop: Header=BB0_347 Depth=4
	global_load_dword v7, v[9:10], off offset:24
	s_waitcnt vmcnt(0)
	v_readfirstlane_b32 s25, v7
	s_and_b32 m0, s25, 0xffffff
	global_store_dwordx2 v[16:17], v[7:8], off
	s_sendmsg sendmsg(MSG_INTERRUPT)
.LBB0_560:                              ;   in Loop: Header=BB0_347 Depth=4
	s_or_b64 exec, exec, s[16:17]
.LBB0_561:                              ;   Parent Loop BB0_3 Depth=1
                                        ;     Parent Loop BB0_6 Depth=2
                                        ;       Parent Loop BB0_322 Depth=3
                                        ;         Parent Loop BB0_347 Depth=4
                                        ; =>        This Inner Loop Header: Depth=5
	v_mov_b32_e32 v2, 1
	s_and_saveexec_b64 s[16:17], s[14:15]
	s_cbranch_execz .LBB0_563
; %bb.562:                              ;   in Loop: Header=BB0_561 Depth=5
	global_load_dword v2, v[13:14], off offset:20 glc
	s_waitcnt vmcnt(0)
	buffer_wbinvl1_vol
	v_and_b32_e32 v2, 1, v2
.LBB0_563:                              ;   in Loop: Header=BB0_561 Depth=5
	s_or_b64 exec, exec, s[16:17]
	v_readfirstlane_b32 s16, v2
	s_cmp_eq_u32 s16, 0
	s_cbranch_scc1 .LBB0_565
; %bb.564:                              ;   in Loop: Header=BB0_561 Depth=5
	s_mov_b64 s[16:17], 0
	s_sleep 1
	s_branch .LBB0_566
.LBB0_565:                              ;   in Loop: Header=BB0_561 Depth=5
	s_mov_b64 s[16:17], -1
.LBB0_566:                              ;   in Loop: Header=BB0_561 Depth=5
	s_andn2_b64 vcc, exec, s[16:17]
	s_cbranch_vccnz .LBB0_561
; %bb.567:                              ;   in Loop: Header=BB0_347 Depth=4
	s_and_b64 exec, exec, s[14:15]
	s_cbranch_execz .LBB0_571
; %bb.568:                              ;   in Loop: Header=BB0_347 Depth=4
	global_load_dwordx2 v[2:3], v8, s[20:21] offset:40
	global_load_dwordx2 v[4:5], v8, s[20:21] offset:24 glc
	global_load_dwordx2 v[6:7], v8, s[20:21]
	s_waitcnt vmcnt(2)
	v_readfirstlane_b32 s16, v2
	v_readfirstlane_b32 s17, v3
	s_add_u32 s25, s16, 1
	s_addc_u32 s26, s17, 0
	s_add_u32 s14, s25, s22
	s_addc_u32 s15, s26, s23
	s_cmp_eq_u64 s[14:15], 0
	s_cselect_b32 s15, s26, s15
	s_cselect_b32 s14, s25, s14
	s_and_b64 s[16:17], s[14:15], s[16:17]
	s_mul_i32 s17, s17, 24
	s_mul_hi_u32 s22, s16, 24
	s_mul_i32 s16, s16, 24
	s_add_i32 s17, s22, s17
	v_mov_b32_e32 v3, s17
	s_waitcnt vmcnt(0)
	v_add_co_u32_e32 v6, vcc, s16, v6
	v_addc_co_u32_e32 v7, vcc, v7, v3, vcc
	v_mov_b32_e32 v2, s14
	global_store_dwordx2 v[6:7], v[4:5], off
	v_mov_b32_e32 v3, s15
	s_waitcnt vmcnt(0)
	global_atomic_cmpswap_x2 v[21:22], v8, v[2:5], s[20:21] offset:24 glc
	s_waitcnt vmcnt(0)
	v_cmp_ne_u64_e32 vcc, v[21:22], v[4:5]
	s_and_b64 exec, exec, vcc
	s_cbranch_execz .LBB0_571
; %bb.569:                              ;   in Loop: Header=BB0_347 Depth=4
	s_mov_b64 s[16:17], 0
.LBB0_570:                              ;   Parent Loop BB0_3 Depth=1
                                        ;     Parent Loop BB0_6 Depth=2
                                        ;       Parent Loop BB0_322 Depth=3
                                        ;         Parent Loop BB0_347 Depth=4
                                        ; =>        This Inner Loop Header: Depth=5
	s_sleep 1
	global_store_dwordx2 v[6:7], v[21:22], off
	v_mov_b32_e32 v19, s14
	v_mov_b32_e32 v20, s15
	s_waitcnt vmcnt(0)
	global_atomic_cmpswap_x2 v[2:3], v8, v[19:22], s[20:21] offset:24 glc
	s_waitcnt vmcnt(0)
	v_cmp_eq_u64_e32 vcc, v[2:3], v[21:22]
	v_mov_b32_e32 v22, v3
	s_or_b64 s[16:17], vcc, s[16:17]
	v_mov_b32_e32 v21, v2
	s_andn2_b64 exec, exec, s[16:17]
	s_cbranch_execnz .LBB0_570
.LBB0_571:                              ;   in Loop: Header=BB0_347 Depth=4
	s_or_b64 exec, exec, s[18:19]
	v_mov_b32_e32 v13, v24
	s_mov_b64 s[18:19], -1
	v_mov_b32_e32 v14, v25
	s_branch .LBB0_574
.LBB0_572:                              ;   in Loop: Header=BB0_347 Depth=4
	v_mov_b32_e32 v13, 0
	v_mov_b32_e32 v14, 0
.LBB0_573:                              ;   in Loop: Header=BB0_347 Depth=4
	s_mov_b64 s[18:19], 0
.LBB0_574:                              ;   in Loop: Header=BB0_347 Depth=4
	v_mov_b32_e32 v25, v14
	v_mov_b32_e32 v24, v13
.LBB0_575:                              ;   in Loop: Header=BB0_347 Depth=4
	s_xor_b64 s[14:15], s[18:19], -1
	s_andn2_b64 vcc, exec, s[14:15]
	s_cbranch_vccnz .LBB0_347
; %bb.576:                              ;   in Loop: Header=BB0_322 Depth=3
	v_cmp_ne_u64_e64 s[12:13], 1, v[24:25]
	s_and_b64 vcc, exec, s[12:13]
	s_cbranch_vccz .LBB0_579
; %bb.577:                              ;   in Loop: Header=BB0_322 Depth=3
	v_mov_b32_e32 v51, v25
	v_mov_b32_e32 v50, v24
	s_branch .LBB0_599
.LBB0_578:                              ;   in Loop: Header=BB0_322 Depth=3
                                        ; implicit-def: $sgpr67
	s_branch .LBB0_599
.LBB0_579:                              ;   in Loop: Header=BB0_322 Depth=3
	v_mbcnt_lo_u32_b32 v2, exec_lo, 0
	v_mbcnt_hi_u32_b32 v2, exec_hi, v2
	v_cmp_eq_u32_e32 vcc, 0, v2
	s_and_saveexec_b64 s[14:15], vcc
	s_cbranch_execz .LBB0_596
; %bb.580:                              ;   in Loop: Header=BB0_322 Depth=3
	global_load_dwordx2 v[2:3], v[38:39], off glc
	s_memrealtime s[16:17]
	s_waitcnt lgkmcnt(0)
	v_mov_b32_e32 v4, s17
	s_waitcnt vmcnt(0)
	v_sub_co_u32_e32 v6, vcc, s16, v2
	v_subb_co_u32_e32 v7, vcc, v4, v3, vcc
	v_cmp_gt_u64_e32 vcc, s[72:73], v[6:7]
	s_and_b64 exec, exec, vcc
	s_cbranch_execz .LBB0_596
; %bb.581:                              ;   in Loop: Header=BB0_322 Depth=3
	s_memrealtime s[18:19]
	v_readfirstlane_b32 s16, v6
	s_sub_i32 s16, 0x4e20, s16
	s_waitcnt lgkmcnt(0)
	s_add_u32 s16, s16, s18
	s_addc_u32 s17, 0, s19
	s_add_u32 s20, s18, 0x659
	s_addc_u32 s21, 0, s19
.LBB0_582:                              ;   Parent Loop BB0_3 Depth=1
                                        ;     Parent Loop BB0_6 Depth=2
                                        ;       Parent Loop BB0_322 Depth=3
                                        ; =>      This Inner Loop Header: Depth=4
	v_mov_b32_e32 v2, s20
	v_mov_b32_e32 v3, s21
	v_cmp_le_u64_e32 vcc, s[16:17], v[2:3]
	s_cbranch_vccnz .LBB0_585
; %bb.583:                              ;   in Loop: Header=BB0_582 Depth=4
	s_sleep 0x7f
	s_memrealtime s[18:19]
	s_waitcnt lgkmcnt(0)
	s_add_u32 s20, s18, 0x659
	s_addc_u32 s21, s19, 0
	s_branch .LBB0_582
.LBB0_584:                              ;   in Loop: Header=BB0_585 Depth=4
	s_sleep 63
	s_memrealtime s[18:19]
.LBB0_585:                              ;   Parent Loop BB0_3 Depth=1
                                        ;     Parent Loop BB0_6 Depth=2
                                        ;       Parent Loop BB0_322 Depth=3
                                        ; =>      This Inner Loop Header: Depth=4
	s_waitcnt lgkmcnt(0)
	s_add_u32 s20, s18, 0x326
	s_addc_u32 s21, s19, 0
	v_mov_b32_e32 v2, s20
	v_mov_b32_e32 v3, s21
	v_cmp_le_u64_e32 vcc, s[16:17], v[2:3]
	s_cbranch_vccz .LBB0_584
; %bb.586:                              ;   in Loop: Header=BB0_322 Depth=3
	s_add_u32 s20, s18, 0x18c
	s_addc_u32 s21, s19, 0
	v_mov_b32_e32 v2, s20
	v_mov_b32_e32 v3, s21
	v_cmp_le_u64_e32 vcc, s[16:17], v[2:3]
	s_cbranch_vccnz .LBB0_589
.LBB0_587:                              ;   Parent Loop BB0_3 Depth=1
                                        ;     Parent Loop BB0_6 Depth=2
                                        ;       Parent Loop BB0_322 Depth=3
                                        ; =>      This Inner Loop Header: Depth=4
	s_sleep 31
	s_memrealtime s[18:19]
	s_waitcnt lgkmcnt(0)
	s_add_u32 s20, s18, 0x18c
	s_addc_u32 s21, s19, 0
	v_mov_b32_e32 v2, s20
	v_mov_b32_e32 v3, s21
	v_cmp_gt_u64_e32 vcc, s[16:17], v[2:3]
	s_cbranch_vccnz .LBB0_587
	s_branch .LBB0_589
.LBB0_588:                              ;   in Loop: Header=BB0_589 Depth=4
	s_sleep 15
	s_memrealtime s[18:19]
.LBB0_589:                              ;   Parent Loop BB0_3 Depth=1
                                        ;     Parent Loop BB0_6 Depth=2
                                        ;       Parent Loop BB0_322 Depth=3
                                        ; =>      This Inner Loop Header: Depth=4
	s_waitcnt lgkmcnt(0)
	s_add_u32 s20, s18, 0xc0
	s_addc_u32 s21, s19, 0
	v_mov_b32_e32 v2, s20
	v_mov_b32_e32 v3, s21
	v_cmp_le_u64_e32 vcc, s[16:17], v[2:3]
	s_cbranch_vccz .LBB0_588
	s_branch .LBB0_591
.LBB0_590:                              ;   in Loop: Header=BB0_591 Depth=4
	s_sleep 7
	s_memrealtime s[18:19]
.LBB0_591:                              ;   Parent Loop BB0_3 Depth=1
                                        ;     Parent Loop BB0_6 Depth=2
                                        ;       Parent Loop BB0_322 Depth=3
                                        ; =>      This Inner Loop Header: Depth=4
	s_waitcnt lgkmcnt(0)
	s_add_u32 s20, s18, 0x59
	s_addc_u32 s21, s19, 0
	v_mov_b32_e32 v2, s20
	v_mov_b32_e32 v3, s21
	v_cmp_le_u64_e32 vcc, s[16:17], v[2:3]
	s_cbranch_vccz .LBB0_590
	;; [unrolled: 15-line block ×3, first 2 shown]
; %bb.594:                              ;   in Loop: Header=BB0_322 Depth=3
	v_mov_b32_e32 v2, s18
	v_mov_b32_e32 v3, s19
	v_cmp_le_u64_e32 vcc, s[16:17], v[2:3]
	s_cbranch_vccnz .LBB0_596
.LBB0_595:                              ;   Parent Loop BB0_3 Depth=1
                                        ;     Parent Loop BB0_6 Depth=2
                                        ;       Parent Loop BB0_322 Depth=3
                                        ; =>      This Inner Loop Header: Depth=4
	s_sleep 1
	s_memrealtime s[18:19]
	s_waitcnt lgkmcnt(0)
	v_mov_b32_e32 v2, s18
	v_mov_b32_e32 v3, s19
	v_cmp_gt_u64_e32 vcc, s[16:17], v[2:3]
	s_cbranch_vccnz .LBB0_595
.LBB0_596:                              ;   in Loop: Header=BB0_322 Depth=3
	s_or_b64 exec, exec, s[14:15]
	v_mov_b32_e32 v2, s67
	s_and_saveexec_b64 s[14:15], s[10:11]
	s_cbranch_execz .LBB0_598
; %bb.597:                              ;   in Loop: Header=BB0_322 Depth=3
	global_load_dword v2, v[28:29], off offset:2048 glc
.LBB0_598:                              ;   in Loop: Header=BB0_322 Depth=3
	s_or_b64 exec, exec, s[14:15]
	s_waitcnt vmcnt(0)
	v_readfirstlane_b32 s67, v2
.LBB0_599:                              ;   in Loop: Header=BB0_322 Depth=3
	s_and_b64 vcc, exec, s[12:13]
	s_cbranch_vccz .LBB0_322
.LBB0_600:                              ;   in Loop: Header=BB0_6 Depth=2
	v_readfirstlane_b32 s14, v50
	v_readfirstlane_b32 s15, v51
	s_cmp_eq_u64 s[14:15], 0
	s_cbranch_scc1 .LBB0_621
; %bb.601:                              ;   in Loop: Header=BB0_6 Depth=2
	v_mov_b32_e32 v3, 0
	s_nop 1
	global_load_dwordx2 v[0:1], v3, s[14:15] offset:8 glc
	s_mov_b64 s[10:11], exec
	v_mbcnt_lo_u32_b32 v2, exec_lo, 0
	v_mbcnt_hi_u32_b32 v2, s11, v2
	v_cmp_eq_u32_e32 vcc, 0, v2
	s_waitcnt vmcnt(0)
	global_load_dword v4, v[0:1], off
	s_waitcnt vmcnt(0)
	v_readfirstlane_b32 s20, v4
	s_and_saveexec_b64 s[12:13], vcc
	s_cbranch_execz .LBB0_605
; %bb.602:                              ;   in Loop: Header=BB0_6 Depth=2
	s_mov_b64 s[18:19], exec
	v_mbcnt_lo_u32_b32 v3, s18, 0
	v_mbcnt_hi_u32_b32 v3, s19, v3
	s_bcnt1_i32_b64 s21, s[10:11]
	v_cmp_eq_u32_e64 s[10:11], 0, v3
                                        ; implicit-def: $vgpr4
	s_and_saveexec_b64 s[16:17], s[10:11]
	s_cbranch_execz .LBB0_604
; %bb.603:                              ;   in Loop: Header=BB0_6 Depth=2
	s_bcnt1_i32_b64 s10, s[18:19]
	s_mul_i32 s10, s21, s10
	v_mov_b32_e32 v4, s10
	global_atomic_add v4, v[0:1], v4, off offset:8 glc
.LBB0_604:                              ;   in Loop: Header=BB0_6 Depth=2
	s_or_b64 exec, exec, s[16:17]
	s_waitcnt vmcnt(0)
	v_readfirstlane_b32 s10, v4
	v_mov_b32_e32 v4, s10
	v_mad_u32_u24 v3, s21, v3, v4
.LBB0_605:                              ;   in Loop: Header=BB0_6 Depth=2
	s_or_b64 exec, exec, s[12:13]
	s_mul_i32 s13, s20, 28
	s_getpc_b64 s[10:11]
	s_add_u32 s10, s10, kinfo@rel32@lo+4
	s_addc_u32 s11, s11, kinfo@rel32@hi+12
	s_mul_hi_u32 s12, s20, 28
	s_add_u32 s16, s10, s13
	s_addc_u32 s17, s11, s12
	s_load_dword s12, s[16:17], 0x0
	v_mov_b32_e32 v9, 0
	v_mov_b32_e32 v10, 0
	v_readfirstlane_b32 s11, v3
	s_waitcnt lgkmcnt(0)
	s_add_i32 s10, s12, 31
	s_cmp_lt_u32 s10, 32
	s_cbranch_scc1 .LBB0_615
; %bb.606:                              ;   in Loop: Header=BB0_6 Depth=2
	v_cvt_f32_u32_e32 v3, s12
	s_lshr_b32 s25, s10, 5
	s_sub_i32 s10, 0, s12
	v_cvt_f32_u32_e32 v4, s25
	v_rcp_iflag_f32_e32 v3, v3
	v_add_lshl_u32 v2, s11, v2, 5
	s_lshr_b32 s11, s20, 1
	v_rcp_iflag_f32_e32 v4, v4
	v_mul_f32_e32 v3, 0x4f7ffffe, v3
	v_cvt_u32_f32_e32 v3, v3
	s_add_i32 s11, s11, 4
	v_mul_f32_e32 v4, 0x4f7ffffe, v4
	v_cvt_u32_f32_e32 v4, v4
	v_mul_lo_u32 v5, s10, v3
	s_sub_i32 s10, 0, s25
	s_bfe_i32 s13, s20, 0x10000
	v_mul_lo_u32 v6, s10, v4
	v_mul_hi_u32 v5, v3, v5
	s_lshl_b32 s10, 1, s11
	s_lshr_b32 s11, s10, 1
	s_and_b32 s26, s13, s11
	v_add_u32_e32 v3, v3, v5
	v_mul_hi_u32 v3, v2, v3
	v_mul_hi_u32 v5, v4, v6
	s_add_i32 s26, s26, s10
	s_add_i32 s20, s25, -1
	v_mul_lo_u32 v3, v3, s12
	v_mov_b32_e32 v9, 0
	v_add_u32_e32 v6, v4, v5
	v_mov_b32_e32 v10, 0
	v_sub_u32_e32 v2, v2, v3
	v_subrev_u32_e32 v3, s12, v2
	v_cmp_le_u32_e64 s[10:11], s12, v2
	v_cndmask_b32_e64 v2, v2, v3, s[10:11]
	v_subrev_u32_e32 v3, s12, v2
	v_cmp_le_u32_e64 s[10:11], s12, v2
	v_cndmask_b32_e64 v2, v2, v3, s[10:11]
	v_lshrrev_b32_e32 v7, 5, v2
	s_mov_b64 s[18:19], 0
	v_mov_b32_e32 v2, s20
.LBB0_607:                              ;   Parent Loop BB0_3 Depth=1
                                        ;     Parent Loop BB0_6 Depth=2
                                        ; =>    This Inner Loop Header: Depth=3
	v_lshlrev_b64 v[3:4], 2, v[7:8]
	s_mov_b64 s[22:23], -1
	v_add_co_u32_e64 v13, s[10:11], v0, v3
	v_addc_co_u32_e64 v14, s[10:11], v1, v4, s[10:11]
	global_load_dword v4, v[13:14], off offset:16 glc
                                        ; implicit-def: $vgpr3
	s_waitcnt vmcnt(0)
	v_cmp_ne_u32_e64 s[10:11], -1, v4
	s_and_saveexec_b64 s[20:21], s[10:11]
	s_cbranch_execz .LBB0_611
; %bb.608:                              ;   in Loop: Header=BB0_607 Depth=3
	v_not_b32_e32 v3, v4
	v_ffbl_b32_e32 v4, v3
	v_lshlrev_b32_e64 v5, v4, 1
	global_atomic_or v13, v[13:14], v5, off offset:16 glc
	v_mov_b32_e32 v3, 0
	s_waitcnt vmcnt(0)
	v_and_b32_e32 v5, v13, v5
	v_cmp_ne_u32_e64 s[10:11], 0, v5
	v_cmp_eq_u32_e64 s[12:13], 0, v5
	s_and_saveexec_b64 s[22:23], s[12:13]
	s_cbranch_execz .LBB0_610
; %bb.609:                              ;   in Loop: Header=BB0_607 Depth=3
	s_load_dword s12, s[16:17], 0xc
	v_lshl_or_b32 v3, v7, 5, v4
	v_mul_lo_u32 v3, v3, s26
	s_waitcnt lgkmcnt(0)
	v_add_co_u32_e64 v4, s[12:13], s12, v0
	v_addc_co_u32_e64 v5, s[12:13], 0, v1, s[12:13]
	v_add_co_u32_e64 v9, s[12:13], v4, v3
	v_addc_co_u32_e64 v10, s[12:13], 0, v5, s[12:13]
	v_mov_b32_e32 v3, 2
.LBB0_610:                              ;   in Loop: Header=BB0_607 Depth=3
	s_or_b64 exec, exec, s[22:23]
	s_orn2_b64 s[22:23], s[10:11], exec
.LBB0_611:                              ;   in Loop: Header=BB0_607 Depth=3
	s_or_b64 exec, exec, s[20:21]
	s_and_saveexec_b64 s[12:13], s[22:23]
	s_cbranch_execz .LBB0_613
; %bb.612:                              ;   in Loop: Header=BB0_607 Depth=3
	v_add_u32_e32 v3, 1, v7
	v_mul_hi_u32 v4, v3, v6
	v_mul_lo_u32 v4, v4, s25
	v_sub_u32_e32 v3, v3, v4
	v_subrev_u32_e32 v4, s25, v3
	v_cmp_le_u32_e64 s[10:11], s25, v3
	v_cndmask_b32_e64 v3, v3, v4, s[10:11]
	v_subrev_u32_e32 v4, s25, v3
	v_cmp_le_u32_e64 s[10:11], s25, v3
	v_cndmask_b32_e64 v7, v3, v4, s[10:11]
	v_mov_b32_e32 v3, 0
.LBB0_613:                              ;   in Loop: Header=BB0_607 Depth=3
	s_or_b64 exec, exec, s[12:13]
	v_cmp_ne_u32_e64 s[10:11], 0, v3
	v_subrev_co_u32_e64 v2, s[12:13], 1, v2
	s_or_b64 s[10:11], s[10:11], s[12:13]
	s_and_b64 s[10:11], exec, s[10:11]
	s_or_b64 s[18:19], s[10:11], s[18:19]
	s_andn2_b64 exec, exec, s[18:19]
	s_cbranch_execnz .LBB0_607
; %bb.614:                              ;   in Loop: Header=BB0_6 Depth=2
	s_or_b64 exec, exec, s[18:19]
.LBB0_615:                              ;   in Loop: Header=BB0_6 Depth=2
	v_cmp_ne_u64_e64 s[10:11], 0, v[9:10]
	s_and_saveexec_b64 s[12:13], vcc
	s_cbranch_execz .LBB0_618
; %bb.616:                              ;   in Loop: Header=BB0_6 Depth=2
	s_mov_b64 s[16:17], exec
	v_mbcnt_lo_u32_b32 v0, s16, 0
	v_mbcnt_hi_u32_b32 v0, s17, v0
	v_cmp_eq_u32_e32 vcc, 0, v0
	s_and_b64 s[18:19], exec, vcc
	s_mov_b64 exec, s[18:19]
	s_cbranch_execz .LBB0_618
; %bb.617:                              ;   in Loop: Header=BB0_6 Depth=2
	s_bcnt1_i32_b64 s10, s[10:11]
	s_bcnt1_i32_b64 s11, s[16:17]
	s_mul_i32 s10, s10, s11
	v_mov_b32_e32 v0, s10
	global_atomic_add v8, v0, s[14:15] offset:16
.LBB0_618:                              ;   in Loop: Header=BB0_6 Depth=2
	s_or_b64 exec, exec, s[12:13]
	v_mov_b32_e32 v46, 0
	v_cmp_ne_u64_e32 vcc, 0, v[9:10]
	v_mov_b32_e32 v47, 0
	s_mov_b64 s[10:11], -1
	v_mov_b32_e32 v2, 1
	s_and_saveexec_b64 s[12:13], vcc
	s_cbranch_execz .LBB0_620
; %bb.619:                              ;   in Loop: Header=BB0_6 Depth=2
	v_mov_b32_e32 v47, v10
	v_mov_b32_e32 v2, 0
	s_xor_b64 s[10:11], exec, -1
	v_mov_b32_e32 v46, v9
	v_mov_b32_e32 v0, 0
	buffer_store_dword v0, off, s[0:3], s32 offset:84 ; 4-byte Folded Spill
.LBB0_620:                              ;   in Loop: Header=BB0_6 Depth=2
	s_or_b64 exec, exec, s[12:13]
	s_branch .LBB0_622
.LBB0_621:                              ;   in Loop: Header=BB0_6 Depth=2
	s_mov_b64 s[10:11], 0
	v_mov_b32_e32 v2, 0
	v_mov_b32_e32 v0, 0
	buffer_store_dword v0, off, s[0:3], s32 offset:84 ; 4-byte Folded Spill
.LBB0_622:                              ;   in Loop: Header=BB0_6 Depth=2
	s_and_b64 s[10:11], s[10:11], exec
.LBB0_623:                              ;   in Loop: Header=BB0_6 Depth=2
	s_or_b64 exec, exec, s[78:79]
	v_cndmask_b32_e64 v3, 0, 1, s[10:11]
	v_cmp_ne_u32_e32 vcc, 0, v3
	s_cbranch_vccnz .LBB0_6
; %bb.624:                              ;   in Loop: Header=BB0_3 Depth=1
	buffer_load_dword v0, off, s[0:3], s32 offset:84 ; 4-byte Folded Reload
.LBB0_625:                              ;   in Loop: Header=BB0_3 Depth=1
	s_or_b64 exec, exec, s[76:77]
.LBB0_626:                              ;   in Loop: Header=BB0_3 Depth=1
	s_or_b64 exec, exec, s[74:75]
	s_waitcnt vmcnt(0)
	v_cmp_ne_u32_e32 vcc, 0, v0
	s_cbranch_vccnz .LBB0_3
; %bb.627:
                                        ; implicit-def: $vgpr2_vgpr3
                                        ; implicit-def: $vgpr4
.LBB0_628:
	s_andn2_saveexec_b64 s[6:7], s[40:41]
	s_cbranch_execz .LBB0_660
; %bb.629:
	s_load_dwordx2 s[10:11], s[8:9], 0x50
	v_mbcnt_hi_u32_b32 v1, -1, v4
	v_readfirstlane_b32 s4, v1
	v_mov_b32_e32 v8, 0
	v_mov_b32_e32 v9, 0
	v_cmp_eq_u32_e64 s[4:5], s4, v1
	s_and_saveexec_b64 s[12:13], s[4:5]
	s_cbranch_execz .LBB0_635
; %bb.630:
	v_mov_b32_e32 v0, 0
	s_waitcnt lgkmcnt(0)
	global_load_dwordx2 v[6:7], v0, s[10:11] offset:24 glc
	s_waitcnt vmcnt(0)
	buffer_wbinvl1_vol
	global_load_dwordx2 v[4:5], v0, s[10:11] offset:40
	global_load_dwordx2 v[8:9], v0, s[10:11]
	s_waitcnt vmcnt(1)
	v_and_b32_e32 v4, v4, v6
	v_and_b32_e32 v5, v5, v7
	v_mul_lo_u32 v5, v5, 24
	v_mul_hi_u32 v10, v4, 24
	v_mul_lo_u32 v4, v4, 24
	v_add_u32_e32 v5, v10, v5
	s_waitcnt vmcnt(0)
	v_add_co_u32_e32 v4, vcc, v8, v4
	v_addc_co_u32_e32 v5, vcc, v9, v5, vcc
	global_load_dwordx2 v[4:5], v[4:5], off glc
	s_waitcnt vmcnt(0)
	global_atomic_cmpswap_x2 v[8:9], v0, v[4:7], s[10:11] offset:24 glc
	s_waitcnt vmcnt(0)
	buffer_wbinvl1_vol
	v_cmp_ne_u64_e32 vcc, v[8:9], v[6:7]
	s_and_saveexec_b64 s[14:15], vcc
	s_cbranch_execz .LBB0_634
; %bb.631:
	s_mov_b64 s[16:17], 0
.LBB0_632:                              ; =>This Inner Loop Header: Depth=1
	s_sleep 1
	global_load_dwordx2 v[4:5], v0, s[10:11] offset:40
	global_load_dwordx2 v[10:11], v0, s[10:11]
	v_mov_b32_e32 v6, v8
	v_mov_b32_e32 v7, v9
	s_waitcnt vmcnt(1)
	v_and_b32_e32 v4, v4, v6
	s_waitcnt vmcnt(0)
	v_mad_u64_u32 v[8:9], s[18:19], v4, 24, v[10:11]
	v_and_b32_e32 v5, v5, v7
	v_mov_b32_e32 v4, v9
	v_mad_u64_u32 v[4:5], s[18:19], v5, 24, v[4:5]
	v_mov_b32_e32 v9, v4
	global_load_dwordx2 v[4:5], v[8:9], off glc
	s_waitcnt vmcnt(0)
	global_atomic_cmpswap_x2 v[8:9], v0, v[4:7], s[10:11] offset:24 glc
	s_waitcnt vmcnt(0)
	buffer_wbinvl1_vol
	v_cmp_eq_u64_e32 vcc, v[8:9], v[6:7]
	s_or_b64 s[16:17], vcc, s[16:17]
	s_andn2_b64 exec, exec, s[16:17]
	s_cbranch_execnz .LBB0_632
; %bb.633:
	s_or_b64 exec, exec, s[16:17]
.LBB0_634:
	s_or_b64 exec, exec, s[14:15]
.LBB0_635:
	s_or_b64 exec, exec, s[12:13]
	v_mov_b32_e32 v0, 0
	s_waitcnt lgkmcnt(0)
	global_load_dwordx2 v[10:11], v0, s[10:11] offset:40
	global_load_dwordx4 v[4:7], v0, s[10:11]
	v_readfirstlane_b32 s13, v9
	v_readfirstlane_b32 s12, v8
	s_mov_b64 s[14:15], exec
	s_waitcnt vmcnt(1)
	v_readfirstlane_b32 s16, v10
	v_readfirstlane_b32 s17, v11
	s_and_b64 s[16:17], s[16:17], s[12:13]
	s_mul_i32 s18, s17, 24
	s_mul_hi_u32 s19, s16, 24
	s_mul_i32 s20, s16, 24
	s_add_i32 s18, s19, s18
	v_mov_b32_e32 v9, s18
	s_waitcnt vmcnt(0)
	v_add_co_u32_e32 v8, vcc, s20, v4
	v_addc_co_u32_e32 v9, vcc, v5, v9, vcc
	s_and_saveexec_b64 s[18:19], s[4:5]
	s_cbranch_execz .LBB0_637
; %bb.636:
	v_mov_b32_e32 v10, s14
	v_mov_b32_e32 v11, s15
	;; [unrolled: 1-line block ×4, first 2 shown]
	global_store_dwordx4 v[8:9], v[10:13], off offset:8
.LBB0_637:
	s_or_b64 exec, exec, s[18:19]
	s_lshl_b64 s[14:15], s[16:17], 12
	v_mov_b32_e32 v10, s15
	v_add_co_u32_e32 v11, vcc, s14, v6
	v_addc_co_u32_e32 v10, vcc, v7, v10, vcc
	v_lshlrev_b32_e32 v12, 6, v1
	s_mov_b32 s16, 0
	v_mov_b32_e32 v1, v0
	v_readfirstlane_b32 s14, v11
	v_readfirstlane_b32 s15, v10
	v_add_co_u32_e32 v6, vcc, v11, v12
	s_mov_b32 s17, s16
	s_mov_b32 s18, s16
	;; [unrolled: 1-line block ×3, first 2 shown]
	s_nop 0
	global_store_dwordx4 v12, v[0:3], s[14:15]
	v_addc_co_u32_e32 v7, vcc, 0, v10, vcc
	v_mov_b32_e32 v0, s16
	v_mov_b32_e32 v1, s17
	;; [unrolled: 1-line block ×4, first 2 shown]
	global_store_dwordx4 v12, v[0:3], s[14:15] offset:16
	global_store_dwordx4 v12, v[0:3], s[14:15] offset:32
	;; [unrolled: 1-line block ×3, first 2 shown]
	s_and_saveexec_b64 s[14:15], s[4:5]
	s_cbranch_execz .LBB0_645
; %bb.638:
	v_mov_b32_e32 v10, 0
	global_load_dwordx2 v[13:14], v10, s[10:11] offset:32 glc
	global_load_dwordx2 v[0:1], v10, s[10:11] offset:40
	v_mov_b32_e32 v11, s12
	v_mov_b32_e32 v12, s13
	s_waitcnt vmcnt(0)
	v_and_b32_e32 v0, s12, v0
	v_and_b32_e32 v1, s13, v1
	v_mul_lo_u32 v1, v1, 24
	v_mul_hi_u32 v2, v0, 24
	v_mul_lo_u32 v0, v0, 24
	v_add_u32_e32 v1, v2, v1
	v_add_co_u32_e32 v4, vcc, v4, v0
	v_addc_co_u32_e32 v5, vcc, v5, v1, vcc
	global_store_dwordx2 v[4:5], v[13:14], off
	s_waitcnt vmcnt(0)
	global_atomic_cmpswap_x2 v[2:3], v10, v[11:14], s[10:11] offset:32 glc
	s_waitcnt vmcnt(0)
	v_cmp_ne_u64_e32 vcc, v[2:3], v[13:14]
	s_and_saveexec_b64 s[16:17], vcc
	s_cbranch_execz .LBB0_641
; %bb.639:
	s_mov_b64 s[18:19], 0
.LBB0_640:                              ; =>This Inner Loop Header: Depth=1
	s_sleep 1
	global_store_dwordx2 v[4:5], v[2:3], off
	v_mov_b32_e32 v0, s12
	v_mov_b32_e32 v1, s13
	s_waitcnt vmcnt(0)
	global_atomic_cmpswap_x2 v[0:1], v10, v[0:3], s[10:11] offset:32 glc
	s_waitcnt vmcnt(0)
	v_cmp_eq_u64_e32 vcc, v[0:1], v[2:3]
	v_mov_b32_e32 v3, v1
	s_or_b64 s[18:19], vcc, s[18:19]
	v_mov_b32_e32 v2, v0
	s_andn2_b64 exec, exec, s[18:19]
	s_cbranch_execnz .LBB0_640
.LBB0_641:
	s_or_b64 exec, exec, s[16:17]
	v_mov_b32_e32 v3, 0
	global_load_dwordx2 v[0:1], v3, s[10:11] offset:16
	s_mov_b64 s[16:17], exec
	v_mbcnt_lo_u32_b32 v2, s16, 0
	v_mbcnt_hi_u32_b32 v2, s17, v2
	v_cmp_eq_u32_e32 vcc, 0, v2
	s_and_saveexec_b64 s[18:19], vcc
	s_cbranch_execz .LBB0_643
; %bb.642:
	s_bcnt1_i32_b64 s16, s[16:17]
	v_mov_b32_e32 v2, s16
	s_waitcnt vmcnt(0)
	global_atomic_add_x2 v[0:1], v[2:3], off offset:8
.LBB0_643:
	s_or_b64 exec, exec, s[18:19]
	s_waitcnt vmcnt(0)
	global_load_dwordx2 v[2:3], v[0:1], off offset:16
	s_waitcnt vmcnt(0)
	v_cmp_eq_u64_e32 vcc, 0, v[2:3]
	s_cbranch_vccnz .LBB0_645
; %bb.644:
	global_load_dword v0, v[0:1], off offset:24
	v_mov_b32_e32 v1, 0
	s_waitcnt vmcnt(0)
	v_readfirstlane_b32 s16, v0
	s_and_b32 m0, s16, 0xffffff
	global_store_dwordx2 v[2:3], v[0:1], off
	s_sendmsg sendmsg(MSG_INTERRUPT)
.LBB0_645:
	s_or_b64 exec, exec, s[14:15]
.LBB0_646:                              ; =>This Inner Loop Header: Depth=1
	v_mov_b32_e32 v0, 1
	s_and_saveexec_b64 s[14:15], s[4:5]
	s_cbranch_execz .LBB0_648
; %bb.647:                              ;   in Loop: Header=BB0_646 Depth=1
	global_load_dword v0, v[8:9], off offset:20 glc
	s_waitcnt vmcnt(0)
	buffer_wbinvl1_vol
	v_and_b32_e32 v0, 1, v0
.LBB0_648:                              ;   in Loop: Header=BB0_646 Depth=1
	s_or_b64 exec, exec, s[14:15]
	v_readfirstlane_b32 s14, v0
	s_cmp_eq_u32 s14, 0
	s_cbranch_scc1 .LBB0_650
; %bb.649:                              ;   in Loop: Header=BB0_646 Depth=1
	s_mov_b64 s[14:15], 0
	s_sleep 1
	s_branch .LBB0_651
.LBB0_650:                              ;   in Loop: Header=BB0_646 Depth=1
	s_mov_b64 s[14:15], -1
.LBB0_651:                              ;   in Loop: Header=BB0_646 Depth=1
	s_andn2_b64 vcc, exec, s[14:15]
	s_cbranch_vccnz .LBB0_646
; %bb.652:
	global_load_dwordx2 v[46:47], v[6:7], off
	s_and_saveexec_b64 s[14:15], s[4:5]
	s_cbranch_execz .LBB0_655
; %bb.653:
	v_mov_b32_e32 v8, 0
	global_load_dwordx2 v[2:3], v8, s[10:11] offset:40
	global_load_dwordx2 v[11:12], v8, s[10:11] offset:24 glc
	global_load_dwordx2 v[4:5], v8, s[10:11]
	s_waitcnt vmcnt(2)
	v_readfirstlane_b32 s16, v2
	v_readfirstlane_b32 s17, v3
	s_add_u32 s18, s16, 1
	s_addc_u32 s19, s17, 0
	s_add_u32 s4, s18, s12
	s_addc_u32 s5, s19, s13
	s_cmp_eq_u64 s[4:5], 0
	s_cselect_b32 s5, s19, s5
	s_cselect_b32 s4, s18, s4
	s_and_b64 s[12:13], s[4:5], s[16:17]
	s_mul_i32 s13, s13, 24
	s_mul_hi_u32 s16, s12, 24
	s_mul_i32 s12, s12, 24
	s_add_i32 s13, s16, s13
	v_mov_b32_e32 v2, s13
	s_waitcnt vmcnt(0)
	v_add_co_u32_e32 v6, vcc, s12, v4
	v_addc_co_u32_e32 v7, vcc, v5, v2, vcc
	v_mov_b32_e32 v9, s4
	global_store_dwordx2 v[6:7], v[11:12], off
	v_mov_b32_e32 v10, s5
	s_waitcnt vmcnt(0)
	global_atomic_cmpswap_x2 v[4:5], v8, v[9:12], s[10:11] offset:24 glc
	s_mov_b64 s[12:13], 0
	s_waitcnt vmcnt(0)
	v_cmp_ne_u64_e32 vcc, v[4:5], v[11:12]
	s_and_b64 exec, exec, vcc
	s_cbranch_execz .LBB0_655
.LBB0_654:                              ; =>This Inner Loop Header: Depth=1
	s_sleep 1
	global_store_dwordx2 v[6:7], v[4:5], off
	v_mov_b32_e32 v2, s4
	v_mov_b32_e32 v3, s5
	s_waitcnt vmcnt(0)
	global_atomic_cmpswap_x2 v[2:3], v8, v[2:5], s[10:11] offset:24 glc
	s_waitcnt vmcnt(0)
	v_cmp_eq_u64_e32 vcc, v[2:3], v[4:5]
	v_mov_b32_e32 v5, v3
	s_or_b64 s[12:13], vcc, s[12:13]
	v_mov_b32_e32 v4, v2
	s_andn2_b64 exec, exec, s[12:13]
	s_cbranch_execnz .LBB0_654
.LBB0_655:
	s_or_b64 exec, exec, s[14:15]
	s_waitcnt vmcnt(0)
	v_cmp_ne_u64_e32 vcc, 0, v[46:47]
	s_and_saveexec_b64 s[4:5], vcc
	s_cbranch_execz .LBB0_659
; %bb.656:
	s_mov_b64 s[10:11], exec
	v_mbcnt_lo_u32_b32 v2, exec_lo, 0
	v_mbcnt_hi_u32_b32 v2, s11, v2
	v_cmp_eq_u32_e32 vcc, 0, v2
	s_and_b64 s[12:13], exec, vcc
	s_mov_b64 exec, s[12:13]
	s_cbranch_execz .LBB0_659
; %bb.657:
	s_mov_b64 s[12:13], exec
	v_mbcnt_lo_u32_b32 v2, s12, 0
	v_mbcnt_hi_u32_b32 v2, s13, v2
	v_cmp_eq_u32_e32 vcc, 0, v2
	s_and_b64 s[14:15], exec, vcc
	s_mov_b64 exec, s[14:15]
	s_cbranch_execz .LBB0_659
; %bb.658:
	s_load_dwordx2 s[8:9], s[8:9], 0x60
	s_bcnt1_i32_b64 s10, s[10:11]
	s_bcnt1_i32_b64 s11, s[12:13]
	s_mul_i32 s10, s10, s11
	v_mov_b32_e32 v2, s10
	v_mov_b32_e32 v3, 0
	;; [unrolled: 1-line block ×3, first 2 shown]
	s_waitcnt lgkmcnt(0)
	global_atomic_add_x2 v4, v[2:3], s[8:9] offset:2184
.LBB0_659:
	s_or_b64 exec, exec, s[4:5]
.LBB0_660:
	s_or_b64 exec, exec, s[6:7]
.LBB0_661:
	s_or_b64 exec, exec, s[28:29]
	v_mov_b32_e32 v0, v46
	v_mov_b32_e32 v1, v47
	buffer_load_dword v62, off, s[0:3], s32 ; 4-byte Folded Reload
	buffer_load_dword v61, off, s[0:3], s32 offset:4 ; 4-byte Folded Reload
	buffer_load_dword v60, off, s[0:3], s32 offset:8 ; 4-byte Folded Reload
	;; [unrolled: 1-line block ×14, first 2 shown]
	v_readlane_b32 s30, v63, 25
	v_readlane_b32 s31, v63, 26
	;; [unrolled: 1-line block ×27, first 2 shown]
	s_or_saveexec_b64 s[4:5], -1
	buffer_load_dword v63, off, s[0:3], s32 offset:96 ; 4-byte Folded Reload
	s_mov_b64 exec, s[4:5]
	s_waitcnt vmcnt(0) lgkmcnt(0)
	s_setpc_b64 s[30:31]
.Lfunc_end0:
	.size	__ockl_dm_alloc, .Lfunc_end0-__ockl_dm_alloc
                                        ; -- End function
	.set .L__ockl_dm_alloc.num_vgpr, 64
	.set .L__ockl_dm_alloc.num_agpr, 0
	.set .L__ockl_dm_alloc.numbered_sgpr, 96
	.set .L__ockl_dm_alloc.num_named_barrier, 0
	.set .L__ockl_dm_alloc.private_seg_size, 104
	.set .L__ockl_dm_alloc.uses_vcc, 1
	.set .L__ockl_dm_alloc.uses_flat_scratch, 0
	.set .L__ockl_dm_alloc.has_dyn_sized_stack, 0
	.set .L__ockl_dm_alloc.has_recursion, 0
	.set .L__ockl_dm_alloc.has_indirect_call, 0
	.section	.AMDGPU.csdata,"",@progbits
; Function info:
; codeLenInByte = 20784
; TotalNumSgprs: 100
; NumVgprs: 64
; ScratchSize: 104
; MemoryBound: 1
	.section	.text.unlikely.,"ax",@progbits
	.p2align	2                               ; -- Begin function __ockl_dm_dealloc
	.type	__ockl_dm_dealloc,@function
__ockl_dm_dealloc:                      ; @__ockl_dm_dealloc
; %bb.0:
	s_waitcnt vmcnt(0) expcnt(0) lgkmcnt(0)
	v_and_b32_e32 v2, 0xfff, v0
	v_mov_b32_e32 v3, 0
	v_cmp_ne_u64_e32 vcc, 0, v[2:3]
	s_and_saveexec_b64 s[4:5], vcc
	s_xor_b64 s[10:11], exec, s[4:5]
	s_cbranch_execz .LBB1_14
; %bb.1:
	v_and_b32_e32 v4, 0xffe00000, v0
	v_mov_b32_e32 v5, v1
	global_load_dwordx2 v[6:7], v[4:5], off
	s_load_dwordx2 s[4:5], s[8:9], 0x60
	s_movk_i32 s12, 0xff
	s_movk_i32 s13, 0x1800
	s_getpc_b64 s[6:7]
	s_add_u32 s6, s6, kinfo@rel32@lo+4
	s_addc_u32 s7, s7, kinfo@rel32@hi+12
	v_and_b32_e32 v15, 0x1fffff, v0
	s_waitcnt lgkmcnt(0)
	v_mov_b32_e32 v9, s5
	v_mov_b32_e32 v8, s4
	;; [unrolled: 1-line block ×3, first 2 shown]
	s_waitcnt vmcnt(0)
	v_lshrrev_b32_e32 v1, 1, v6
	v_add_u32_e32 v1, 4, v1
	v_lshlrev_b32_e64 v1, v1, 1
	v_bfe_i32 v2, v6, 0, 1
	v_lshrrev_b32_e32 v10, 1, v1
	v_and_b32_e32 v2, v2, v10
	v_add_u32_e32 v2, v2, v1
	v_cvt_f32_u32_e32 v1, v2
	v_cmp_lt_u32_e64 s[4:5], s12, v7
	v_mad_u64_u32 v[8:9], s[12:13], v6, s13, v[8:9]
	v_rcp_iflag_f32_e32 v1, v1
	v_sub_u32_e32 v11, 0, v2
	v_add_u32_e32 v10, 0xffffff00, v7
	v_add_co_u32_e32 v8, vcc, 0x2800, v8
	v_mul_f32_e32 v1, 0x4f7ffffe, v1
	v_cvt_u32_f32_e32 v1, v1
	v_lshrrev_b32_e32 v10, 8, v10
	v_addc_co_u32_e32 v9, vcc, 0, v9, vcc
	v_mul_lo_u32 v12, v11, v1
	v_mad_u64_u32 v[10:11], s[12:13], v10, 24, v[8:9]
	v_and_b32_e32 v14, 0xff, v7
	v_mul_hi_u32 v16, v1, v12
	v_mad_u64_u32 v[12:13], s[6:7], v6, 28, s[6:7]
                                        ; implicit-def: $sgpr12_sgpr13
	v_add_u32_e32 v16, v1, v16
.LBB1_2:                                ; =>This Inner Loop Header: Depth=1
	v_mov_b32_e32 v17, 0
	v_cmp_ne_u32_e32 vcc, 0, v18
	s_andn2_b64 s[12:13], s[12:13], exec
	s_and_saveexec_b64 s[14:15], vcc
	s_cbranch_execz .LBB1_13
; %bb.3:                                ;   in Loop: Header=BB1_2 Depth=1
	v_readfirstlane_b32 s6, v6
	v_readfirstlane_b32 s7, v7
	v_cmp_eq_u32_e32 vcc, s6, v6
	v_cmp_eq_u32_e64 s[6:7], s7, v7
	s_and_b64 s[18:19], vcc, s[6:7]
	s_mov_b64 s[6:7], -1
	v_mov_b32_e32 v17, 1
	s_and_saveexec_b64 s[16:17], s[18:19]
	s_cbranch_execz .LBB1_12
; %bb.4:                                ;   in Loop: Header=BB1_2 Depth=1
	s_mov_b64 s[18:19], exec
	v_mbcnt_lo_u32_b32 v0, exec_lo, 0
	v_mbcnt_hi_u32_b32 v0, s19, v0
	v_mov_b32_e32 v1, 0
	v_cmp_eq_u32_e32 vcc, 0, v0
	v_mov_b32_e32 v0, 0
	s_and_saveexec_b64 s[6:7], vcc
	s_cbranch_execz .LBB1_8
; %bb.5:                                ;   in Loop: Header=BB1_2 Depth=1
	v_mov_b32_e32 v0, v8
	v_mov_b32_e32 v17, v7
	;; [unrolled: 1-line block ×3, first 2 shown]
	s_and_saveexec_b64 s[20:21], s[4:5]
	s_cbranch_execz .LBB1_7
; %bb.6:                                ;   in Loop: Header=BB1_2 Depth=1
	global_load_dwordx2 v[0:1], v[10:11], off glc
	v_mov_b32_e32 v17, v14
.LBB1_7:                                ;   in Loop: Header=BB1_2 Depth=1
	s_or_b64 exec, exec, s[20:21]
	s_waitcnt vmcnt(0)
	v_mad_u64_u32 v[0:1], s[20:21], v17, 24, v[0:1]
.LBB1_8:                                ;   in Loop: Header=BB1_2 Depth=1
	s_or_b64 exec, exec, s[6:7]
	global_load_dword v17, v[12:13], off offset:12
	v_readfirstlane_b32 s20, v0
	v_readfirstlane_b32 s21, v1
	s_waitcnt vmcnt(0)
	v_sub_u32_e32 v17, v15, v17
	v_mul_hi_u32 v18, v17, v16
	v_mul_lo_u32 v19, v18, v2
	v_add_u32_e32 v20, 1, v18
	v_sub_u32_e32 v17, v17, v19
	v_cmp_ge_u32_e64 s[6:7], v17, v2
	v_sub_u32_e32 v19, v17, v2
	v_cndmask_b32_e64 v18, v18, v20, s[6:7]
	v_cndmask_b32_e64 v17, v17, v19, s[6:7]
	v_add_u32_e32 v19, 1, v18
	v_cmp_ge_u32_e64 s[6:7], v17, v2
	v_cndmask_b32_e64 v17, v18, v19, s[6:7]
	v_lshlrev_b32_e64 v18, v17, 1
	v_lshrrev_b32_e32 v17, 3, v17
	v_and_b32_e32 v17, 0x1ffffffc, v17
	v_add_co_u32_e64 v17, s[6:7], v4, v17
	v_not_b32_e32 v19, v18
	v_addc_co_u32_e64 v18, s[6:7], 0, v5, s[6:7]
	global_atomic_and v[17:18], v19, off offset:16
	s_and_saveexec_b64 s[6:7], vcc
	s_cbranch_execz .LBB1_11
; %bb.9:                                ;   in Loop: Header=BB1_2 Depth=1
	s_mov_b64 s[22:23], exec
	v_mbcnt_lo_u32_b32 v0, s22, 0
	v_mbcnt_hi_u32_b32 v0, s23, v0
	v_cmp_eq_u32_e32 vcc, 0, v0
	s_and_b64 s[24:25], exec, vcc
	s_mov_b64 exec, s[24:25]
	s_cbranch_execz .LBB1_11
; %bb.10:                               ;   in Loop: Header=BB1_2 Depth=1
	s_bcnt1_i32_b64 s18, s[18:19]
	s_bcnt1_i32_b64 s19, s[22:23]
	s_mul_i32 s18, s18, s19
	v_mov_b32_e32 v0, s18
	global_atomic_sub v3, v0, s[20:21] offset:16
.LBB1_11:                               ;   in Loop: Header=BB1_2 Depth=1
	s_or_b64 exec, exec, s[6:7]
	v_mov_b32_e32 v17, 0
	s_xor_b64 s[6:7], exec, -1
.LBB1_12:                               ;   in Loop: Header=BB1_2 Depth=1
	s_or_b64 exec, exec, s[16:17]
	s_andn2_b64 s[12:13], s[12:13], exec
	s_and_b64 s[6:7], s[6:7], exec
	s_or_b64 s[12:13], s[12:13], s[6:7]
.LBB1_13:                               ;   in Loop: Header=BB1_2 Depth=1
	s_or_b64 exec, exec, s[14:15]
	v_cndmask_b32_e64 v18, 0, 1, s[12:13]
	v_cmp_ne_u32_e32 vcc, 0, v18
	v_mov_b32_e32 v18, v17
                                        ; implicit-def: $vgpr0_vgpr1
	s_cbranch_vccnz .LBB1_2
.LBB1_14:
	s_andn2_saveexec_b64 s[6:7], s[10:11]
	s_cbranch_execz .LBB1_46
; %bb.15:
	v_cmp_ne_u64_e32 vcc, 0, v[0:1]
	s_and_saveexec_b64 s[10:11], vcc
	s_cbranch_execz .LBB1_45
; %bb.16:
	s_load_dwordx2 s[12:13], s[8:9], 0x50
	v_mbcnt_lo_u32_b32 v2, -1, 0
	v_mbcnt_hi_u32_b32 v3, -1, v2
	v_readfirstlane_b32 s4, v3
	v_mov_b32_e32 v8, 0
	v_mov_b32_e32 v9, 0
	v_cmp_eq_u32_e64 s[4:5], s4, v3
	s_and_saveexec_b64 s[14:15], s[4:5]
	s_cbranch_execz .LBB1_22
; %bb.17:
	v_mov_b32_e32 v2, 0
	s_waitcnt lgkmcnt(0)
	global_load_dwordx2 v[6:7], v2, s[12:13] offset:24 glc
	s_waitcnt vmcnt(0)
	buffer_wbinvl1_vol
	global_load_dwordx2 v[4:5], v2, s[12:13] offset:40
	global_load_dwordx2 v[8:9], v2, s[12:13]
	s_waitcnt vmcnt(1)
	v_and_b32_e32 v4, v4, v6
	v_and_b32_e32 v5, v5, v7
	v_mul_lo_u32 v5, v5, 24
	v_mul_hi_u32 v10, v4, 24
	v_mul_lo_u32 v4, v4, 24
	v_add_u32_e32 v5, v10, v5
	s_waitcnt vmcnt(0)
	v_add_co_u32_e32 v4, vcc, v8, v4
	v_addc_co_u32_e32 v5, vcc, v9, v5, vcc
	global_load_dwordx2 v[4:5], v[4:5], off glc
	s_waitcnt vmcnt(0)
	global_atomic_cmpswap_x2 v[8:9], v2, v[4:7], s[12:13] offset:24 glc
	s_waitcnt vmcnt(0)
	buffer_wbinvl1_vol
	v_cmp_ne_u64_e32 vcc, v[8:9], v[6:7]
	s_and_saveexec_b64 s[16:17], vcc
	s_cbranch_execz .LBB1_21
; %bb.18:
	s_mov_b64 s[18:19], 0
.LBB1_19:                               ; =>This Inner Loop Header: Depth=1
	s_sleep 1
	global_load_dwordx2 v[4:5], v2, s[12:13] offset:40
	global_load_dwordx2 v[10:11], v2, s[12:13]
	v_mov_b32_e32 v6, v8
	v_mov_b32_e32 v7, v9
	s_waitcnt vmcnt(1)
	v_and_b32_e32 v4, v4, v6
	s_waitcnt vmcnt(0)
	v_mad_u64_u32 v[8:9], s[20:21], v4, 24, v[10:11]
	v_and_b32_e32 v5, v5, v7
	v_mov_b32_e32 v4, v9
	v_mad_u64_u32 v[4:5], s[20:21], v5, 24, v[4:5]
	v_mov_b32_e32 v9, v4
	global_load_dwordx2 v[4:5], v[8:9], off glc
	s_waitcnt vmcnt(0)
	global_atomic_cmpswap_x2 v[8:9], v2, v[4:7], s[12:13] offset:24 glc
	s_waitcnt vmcnt(0)
	buffer_wbinvl1_vol
	v_cmp_eq_u64_e32 vcc, v[8:9], v[6:7]
	s_or_b64 s[18:19], vcc, s[18:19]
	s_andn2_b64 exec, exec, s[18:19]
	s_cbranch_execnz .LBB1_19
; %bb.20:
	s_or_b64 exec, exec, s[18:19]
.LBB1_21:
	s_or_b64 exec, exec, s[16:17]
.LBB1_22:
	s_or_b64 exec, exec, s[14:15]
	v_mov_b32_e32 v2, 0
	s_waitcnt lgkmcnt(0)
	global_load_dwordx2 v[10:11], v2, s[12:13] offset:40
	global_load_dwordx4 v[4:7], v2, s[12:13]
	v_readfirstlane_b32 s15, v9
	v_readfirstlane_b32 s14, v8
	s_mov_b64 s[16:17], exec
	s_waitcnt vmcnt(1)
	v_readfirstlane_b32 s18, v10
	v_readfirstlane_b32 s19, v11
	s_and_b64 s[18:19], s[18:19], s[14:15]
	s_mul_i32 s20, s19, 24
	s_mul_hi_u32 s21, s18, 24
	s_mul_i32 s22, s18, 24
	s_add_i32 s20, s21, s20
	v_mov_b32_e32 v9, s20
	s_waitcnt vmcnt(0)
	v_add_co_u32_e32 v8, vcc, s22, v4
	v_addc_co_u32_e32 v9, vcc, v5, v9, vcc
	s_and_saveexec_b64 s[20:21], s[4:5]
	s_cbranch_execz .LBB1_24
; %bb.23:
	v_mov_b32_e32 v10, s16
	v_mov_b32_e32 v11, s17
	;; [unrolled: 1-line block ×4, first 2 shown]
	global_store_dwordx4 v[8:9], v[10:13], off offset:8
.LBB1_24:
	s_or_b64 exec, exec, s[20:21]
	s_lshl_b64 s[16:17], s[18:19], 12
	v_mov_b32_e32 v10, s17
	v_add_co_u32_e32 v6, vcc, s16, v6
	v_addc_co_u32_e32 v7, vcc, v7, v10, vcc
	v_lshlrev_b32_e32 v10, 6, v3
	s_mov_b32 s16, 0
	v_mov_b32_e32 v3, v2
	v_readfirstlane_b32 s20, v6
	v_readfirstlane_b32 s21, v7
	s_mov_b32 s17, s16
	s_mov_b32 s18, s16
	;; [unrolled: 1-line block ×3, first 2 shown]
	s_nop 1
	global_store_dwordx4 v10, v[0:3], s[20:21]
	s_nop 0
	v_mov_b32_e32 v0, s16
	v_mov_b32_e32 v1, s17
	;; [unrolled: 1-line block ×4, first 2 shown]
	global_store_dwordx4 v10, v[0:3], s[20:21] offset:16
	global_store_dwordx4 v10, v[0:3], s[20:21] offset:32
	;; [unrolled: 1-line block ×3, first 2 shown]
	s_and_saveexec_b64 s[16:17], s[4:5]
	s_cbranch_execz .LBB1_32
; %bb.25:
	v_mov_b32_e32 v6, 0
	global_load_dwordx2 v[12:13], v6, s[12:13] offset:32 glc
	global_load_dwordx2 v[0:1], v6, s[12:13] offset:40
	v_mov_b32_e32 v10, s14
	v_mov_b32_e32 v11, s15
	s_waitcnt vmcnt(0)
	v_and_b32_e32 v0, s14, v0
	v_and_b32_e32 v1, s15, v1
	v_mul_lo_u32 v1, v1, 24
	v_mul_hi_u32 v2, v0, 24
	v_mul_lo_u32 v0, v0, 24
	v_add_u32_e32 v1, v2, v1
	v_add_co_u32_e32 v4, vcc, v4, v0
	v_addc_co_u32_e32 v5, vcc, v5, v1, vcc
	global_store_dwordx2 v[4:5], v[12:13], off
	s_waitcnt vmcnt(0)
	global_atomic_cmpswap_x2 v[2:3], v6, v[10:13], s[12:13] offset:32 glc
	s_waitcnt vmcnt(0)
	v_cmp_ne_u64_e32 vcc, v[2:3], v[12:13]
	s_and_saveexec_b64 s[18:19], vcc
	s_cbranch_execz .LBB1_28
; %bb.26:
	s_mov_b64 s[20:21], 0
.LBB1_27:                               ; =>This Inner Loop Header: Depth=1
	s_sleep 1
	global_store_dwordx2 v[4:5], v[2:3], off
	v_mov_b32_e32 v0, s14
	v_mov_b32_e32 v1, s15
	s_waitcnt vmcnt(0)
	global_atomic_cmpswap_x2 v[0:1], v6, v[0:3], s[12:13] offset:32 glc
	s_waitcnt vmcnt(0)
	v_cmp_eq_u64_e32 vcc, v[0:1], v[2:3]
	v_mov_b32_e32 v3, v1
	s_or_b64 s[20:21], vcc, s[20:21]
	v_mov_b32_e32 v2, v0
	s_andn2_b64 exec, exec, s[20:21]
	s_cbranch_execnz .LBB1_27
.LBB1_28:
	s_or_b64 exec, exec, s[18:19]
	v_mov_b32_e32 v3, 0
	global_load_dwordx2 v[0:1], v3, s[12:13] offset:16
	s_mov_b64 s[18:19], exec
	v_mbcnt_lo_u32_b32 v2, s18, 0
	v_mbcnt_hi_u32_b32 v2, s19, v2
	v_cmp_eq_u32_e32 vcc, 0, v2
	s_and_saveexec_b64 s[20:21], vcc
	s_cbranch_execz .LBB1_30
; %bb.29:
	s_bcnt1_i32_b64 s18, s[18:19]
	v_mov_b32_e32 v2, s18
	s_waitcnt vmcnt(0)
	global_atomic_add_x2 v[0:1], v[2:3], off offset:8
.LBB1_30:
	s_or_b64 exec, exec, s[20:21]
	s_waitcnt vmcnt(0)
	global_load_dwordx2 v[2:3], v[0:1], off offset:16
	s_waitcnt vmcnt(0)
	v_cmp_eq_u64_e32 vcc, 0, v[2:3]
	s_cbranch_vccnz .LBB1_32
; %bb.31:
	global_load_dword v0, v[0:1], off offset:24
	v_mov_b32_e32 v1, 0
	s_waitcnt vmcnt(0)
	v_readfirstlane_b32 s18, v0
	s_and_b32 m0, s18, 0xffffff
	global_store_dwordx2 v[2:3], v[0:1], off
	s_sendmsg sendmsg(MSG_INTERRUPT)
.LBB1_32:
	s_or_b64 exec, exec, s[16:17]
.LBB1_33:                               ; =>This Inner Loop Header: Depth=1
	v_mov_b32_e32 v0, 1
	s_and_saveexec_b64 s[16:17], s[4:5]
	s_cbranch_execz .LBB1_35
; %bb.34:                               ;   in Loop: Header=BB1_33 Depth=1
	global_load_dword v0, v[8:9], off offset:20 glc
	s_waitcnt vmcnt(0)
	buffer_wbinvl1_vol
	v_and_b32_e32 v0, 1, v0
.LBB1_35:                               ;   in Loop: Header=BB1_33 Depth=1
	s_or_b64 exec, exec, s[16:17]
	v_readfirstlane_b32 s16, v0
	s_cmp_eq_u32 s16, 0
	s_cbranch_scc1 .LBB1_37
; %bb.36:                               ;   in Loop: Header=BB1_33 Depth=1
	s_mov_b64 s[16:17], 0
	s_sleep 1
	s_branch .LBB1_38
.LBB1_37:                               ;   in Loop: Header=BB1_33 Depth=1
	s_mov_b64 s[16:17], -1
.LBB1_38:                               ;   in Loop: Header=BB1_33 Depth=1
	s_andn2_b64 vcc, exec, s[16:17]
	s_cbranch_vccnz .LBB1_33
; %bb.39:
	s_and_saveexec_b64 s[16:17], s[4:5]
	s_cbranch_execz .LBB1_42
; %bb.40:
	v_mov_b32_e32 v6, 0
	global_load_dwordx2 v[0:1], v6, s[12:13] offset:40
	global_load_dwordx2 v[9:10], v6, s[12:13] offset:24 glc
	global_load_dwordx2 v[2:3], v6, s[12:13]
	s_waitcnt vmcnt(2)
	v_readfirstlane_b32 s18, v0
	v_readfirstlane_b32 s19, v1
	s_add_u32 s20, s18, 1
	s_addc_u32 s21, s19, 0
	s_add_u32 s4, s20, s14
	s_addc_u32 s5, s21, s15
	s_cmp_eq_u64 s[4:5], 0
	s_cselect_b32 s5, s21, s5
	s_cselect_b32 s4, s20, s4
	s_and_b64 s[14:15], s[4:5], s[18:19]
	s_mul_i32 s15, s15, 24
	s_mul_hi_u32 s18, s14, 24
	s_mul_i32 s14, s14, 24
	s_add_i32 s15, s18, s15
	v_mov_b32_e32 v0, s15
	s_waitcnt vmcnt(0)
	v_add_co_u32_e32 v4, vcc, s14, v2
	v_addc_co_u32_e32 v5, vcc, v3, v0, vcc
	v_mov_b32_e32 v7, s4
	global_store_dwordx2 v[4:5], v[9:10], off
	v_mov_b32_e32 v8, s5
	s_waitcnt vmcnt(0)
	global_atomic_cmpswap_x2 v[2:3], v6, v[7:10], s[12:13] offset:24 glc
	s_mov_b64 s[14:15], 0
	s_waitcnt vmcnt(0)
	v_cmp_ne_u64_e32 vcc, v[2:3], v[9:10]
	s_and_b64 exec, exec, vcc
	s_cbranch_execz .LBB1_42
.LBB1_41:                               ; =>This Inner Loop Header: Depth=1
	s_sleep 1
	global_store_dwordx2 v[4:5], v[2:3], off
	v_mov_b32_e32 v0, s4
	v_mov_b32_e32 v1, s5
	s_waitcnt vmcnt(0)
	global_atomic_cmpswap_x2 v[0:1], v6, v[0:3], s[12:13] offset:24 glc
	s_waitcnt vmcnt(0)
	v_cmp_eq_u64_e32 vcc, v[0:1], v[2:3]
	v_mov_b32_e32 v3, v1
	s_or_b64 s[14:15], vcc, s[14:15]
	v_mov_b32_e32 v2, v0
	s_andn2_b64 exec, exec, s[14:15]
	s_cbranch_execnz .LBB1_41
.LBB1_42:
	s_or_b64 exec, exec, s[16:17]
	s_mov_b64 s[4:5], exec
	v_mbcnt_lo_u32_b32 v0, exec_lo, 0
	v_mbcnt_hi_u32_b32 v0, s5, v0
	v_cmp_eq_u32_e32 vcc, 0, v0
	s_and_b64 s[12:13], exec, vcc
	s_mov_b64 exec, s[12:13]
	s_cbranch_execz .LBB1_45
; %bb.43:
	s_mov_b64 s[12:13], exec
	v_mbcnt_lo_u32_b32 v0, s12, 0
	v_mbcnt_hi_u32_b32 v0, s13, v0
	v_cmp_eq_u32_e32 vcc, 0, v0
	s_and_b64 s[14:15], exec, vcc
	s_mov_b64 exec, s[14:15]
	s_cbranch_execz .LBB1_45
; %bb.44:
	s_bcnt1_i32_b64 s14, s[4:5]
	s_load_dwordx2 s[4:5], s[8:9], 0x60
	s_bcnt1_i32_b64 s8, s[12:13]
	s_mul_i32 s14, s14, s8
	v_mov_b32_e32 v0, s14
	v_mov_b32_e32 v1, 0
	;; [unrolled: 1-line block ×3, first 2 shown]
	s_waitcnt lgkmcnt(0)
	global_atomic_sub_x2 v2, v[0:1], s[4:5] offset:2184
.LBB1_45:
	s_or_b64 exec, exec, s[10:11]
.LBB1_46:
	s_or_b64 exec, exec, s[6:7]
	s_waitcnt vmcnt(0) lgkmcnt(0)
	s_setpc_b64 s[30:31]
.Lfunc_end1:
	.size	__ockl_dm_dealloc, .Lfunc_end1-__ockl_dm_dealloc
                                        ; -- End function
	.set .L__ockl_dm_dealloc.num_vgpr, 21
	.set .L__ockl_dm_dealloc.num_agpr, 0
	.set .L__ockl_dm_dealloc.numbered_sgpr, 32
	.set .L__ockl_dm_dealloc.num_named_barrier, 0
	.set .L__ockl_dm_dealloc.private_seg_size, 0
	.set .L__ockl_dm_dealloc.uses_vcc, 1
	.set .L__ockl_dm_dealloc.uses_flat_scratch, 0
	.set .L__ockl_dm_dealloc.has_dyn_sized_stack, 0
	.set .L__ockl_dm_dealloc.has_recursion, 0
	.set .L__ockl_dm_dealloc.has_indirect_call, 0
	.section	.AMDGPU.csdata,"",@progbits
; Function info:
; codeLenInByte = 2004
; TotalNumSgprs: 36
; NumVgprs: 21
; ScratchSize: 0
; MemoryBound: 1
	.text
	.protected	_Z24kernel_memory_allocationv ; -- Begin function _Z24kernel_memory_allocationv
	.globl	_Z24kernel_memory_allocationv
	.p2align	8
	.type	_Z24kernel_memory_allocationv,@function
_Z24kernel_memory_allocationv:          ; @_Z24kernel_memory_allocationv
; %bb.0:
	s_load_dword s6, s[4:5], 0xc
	s_add_u32 s0, s0, s7
	s_addc_u32 s1, s1, 0
	s_mov_b32 s33, 0
	v_cmp_eq_u32_e64 s[84:85], 0, v0
	s_waitcnt lgkmcnt(0)
	s_and_b32 s83, s6, 0xffff
	s_mov_b32 s32, 0
	s_and_saveexec_b64 s[86:87], s[84:85]
	s_cbranch_execnz .LBB2_6
.LBB2_1:
	s_or_b64 exec, exec, s[86:87]
	v_mov_b32_e32 v2, 0
	s_waitcnt lgkmcnt(0)
	s_barrier
	ds_read_b64 v[3:4], v2
	v_lshlrev_b32_e32 v1, 2, v0
	s_lshl_b32 s6, s83, 4
	s_lshl_b32 s7, s83, 1
	s_mul_i32 s8, s83, 3
	s_waitcnt lgkmcnt(0)
	v_add_co_u32_e32 v5, vcc, v3, v1
	s_lshl_b32 s9, s83, 2
	s_mul_i32 s10, s83, 5
	s_mul_i32 s11, s83, 6
	;; [unrolled: 1-line block ×3, first 2 shown]
	s_lshl_b32 s13, s83, 3
	s_mul_i32 s14, s83, 9
	s_mul_i32 s15, s83, 10
	;; [unrolled: 1-line block ×7, first 2 shown]
	v_addc_co_u32_e32 v6, vcc, 0, v4, vcc
	s_lshl_b32 s21, s83, 6
.LBB2_2:                                ; =>This Inner Loop Header: Depth=1
	v_mov_b32_e32 v7, s33
	v_add_u32_e32 v1, s83, v0
	flat_store_dword v[5:6], v7
	v_lshlrev_b64 v[7:8], 2, v[1:2]
	s_add_i32 s22, s33, 1
	v_add_co_u32_e32 v7, vcc, v3, v7
	v_mov_b32_e32 v9, s22
	v_add_u32_e32 v1, s7, v0
	v_addc_co_u32_e32 v8, vcc, v4, v8, vcc
	flat_store_dword v[7:8], v9
	v_lshlrev_b64 v[7:8], 2, v[1:2]
	s_add_i32 s23, s33, 2
	v_add_co_u32_e32 v7, vcc, v3, v7
	v_mov_b32_e32 v10, s23
	v_addc_co_u32_e32 v8, vcc, v4, v8, vcc
	v_add_u32_e32 v1, s8, v0
	flat_store_dword v[7:8], v10
	v_lshlrev_b64 v[7:8], 2, v[1:2]
	s_add_i32 s24, s33, 3
	v_add_co_u32_e32 v7, vcc, v3, v7
	v_mov_b32_e32 v11, s24
	v_addc_co_u32_e32 v8, vcc, v4, v8, vcc
	v_add_u32_e32 v1, s9, v0
	;; [unrolled: 7-line block ×5, first 2 shown]
	v_add_co_u32_e32 v5, vcc, s21, v5
	flat_store_dword v[7:8], v14
	v_lshlrev_b64 v[7:8], 2, v[1:2]
	v_addc_co_u32_e32 v6, vcc, 0, v6, vcc
	v_add_u32_e32 v1, s13, v0
	s_add_i32 s28, s33, 7
	v_add_co_u32_e32 v7, vcc, v3, v7
	v_lshlrev_b64 v[9:10], 2, v[1:2]
	v_mov_b32_e32 v15, s28
	v_addc_co_u32_e32 v8, vcc, v4, v8, vcc
	v_add_u32_e32 v1, s14, v0
	flat_store_dword v[7:8], v15
	v_add_co_u32_e32 v7, vcc, v3, v9
	s_add_i32 s29, s33, 8
	v_addc_co_u32_e32 v8, vcc, v4, v10, vcc
	v_lshlrev_b64 v[9:10], 2, v[1:2]
	v_mov_b32_e32 v16, s29
	v_add_u32_e32 v1, s15, v0
	flat_store_dword v[7:8], v16
	v_lshlrev_b64 v[7:8], 2, v[1:2]
	v_add_co_u32_e32 v9, vcc, v3, v9
	v_add_u32_e32 v1, s16, v0
	v_addc_co_u32_e32 v10, vcc, v4, v10, vcc
	s_add_i32 s30, s33, 9
	s_add_i32 s31, s33, 10
	v_lshlrev_b64 v[11:12], 2, v[1:2]
	v_add_co_u32_e32 v7, vcc, v3, v7
	v_mov_b32_e32 v17, s30
	v_mov_b32_e32 v18, s31
	v_add_u32_e32 v1, s17, v0
	v_addc_co_u32_e32 v8, vcc, v4, v8, vcc
	s_add_i32 s34, s33, 11
	flat_store_dword v[9:10], v17
	v_lshlrev_b64 v[9:10], 2, v[1:2]
	flat_store_dword v[7:8], v18
	v_add_co_u32_e32 v7, vcc, v3, v11
	v_mov_b32_e32 v19, s34
	v_add_u32_e32 v1, s18, v0
	v_addc_co_u32_e32 v8, vcc, v4, v12, vcc
	s_add_i32 s35, s33, 12
	v_lshlrev_b64 v[11:12], 2, v[1:2]
	flat_store_dword v[7:8], v19
	v_add_co_u32_e32 v7, vcc, v3, v9
	v_mov_b32_e32 v20, s35
	v_add_u32_e32 v1, s19, v0
	v_addc_co_u32_e32 v8, vcc, v4, v10, vcc
	s_add_i32 s36, s33, 13
	;; [unrolled: 7-line block ×3, first 2 shown]
	v_lshlrev_b64 v[11:12], 2, v[1:2]
	flat_store_dword v[7:8], v21
	v_add_co_u32_e32 v7, vcc, v3, v9
	v_mov_b32_e32 v22, s37
	v_addc_co_u32_e32 v8, vcc, v4, v10, vcc
	s_add_i32 s38, s33, 15
	s_add_i32 s33, s33, 16
	flat_store_dword v[7:8], v22
	v_add_co_u32_e32 v7, vcc, v3, v11
	v_mov_b32_e32 v13, s38
	s_cmpk_eq_i32 s33, 0x400
	v_add_u32_e32 v0, s6, v0
	v_addc_co_u32_e32 v8, vcc, v4, v12, vcc
	flat_store_dword v[7:8], v13
	s_cbranch_scc0 .LBB2_2
; %bb.3:
	s_waitcnt vmcnt(0) lgkmcnt(0)
	s_barrier
	s_and_saveexec_b64 s[6:7], s[84:85]
	s_cbranch_execz .LBB2_5
; %bb.4:
	v_mov_b32_e32 v0, 0
	ds_read_b64 v[0:1], v0
	s_waitcnt lgkmcnt(0)
	v_cmp_eq_u64_e32 vcc, 0, v[0:1]
	s_cbranch_vccz .LBB2_7
.LBB2_5:
	s_endpgm
.LBB2_6:
	s_lshl_b32 s6, s83, 12
	s_max_u32 s10, s6, 1
	s_getpc_b64 s[6:7]
	s_add_u32 s6, s6, __ockl_dm_alloc@rel32@lo+4
	s_addc_u32 s7, s7, __ockl_dm_alloc@rel32@hi+12
	s_mov_b64 s[8:9], s[4:5]
	v_mov_b32_e32 v40, v0
	v_mov_b32_e32 v0, s10
	;; [unrolled: 1-line block ×4, first 2 shown]
	s_mov_b64 s[96:97], s[4:5]
	s_swappc_b64 s[30:31], s[6:7]
	s_mov_b64 s[4:5], s[96:97]
	v_mov_b32_e32 v2, v0
	v_mov_b32_e32 v0, v40
	;; [unrolled: 1-line block ×3, first 2 shown]
	ds_write_b64 v41, v[2:3]
	s_branch .LBB2_1
.LBB2_7:
	s_getpc_b64 s[6:7]
	s_add_u32 s6, s6, __ockl_dm_dealloc@rel32@lo+4
	s_addc_u32 s7, s7, __ockl_dm_dealloc@rel32@hi+12
	s_mov_b64 s[8:9], s[4:5]
	s_swappc_b64 s[30:31], s[6:7]
	s_endpgm
	.section	.rodata,"a",@progbits
	.p2align	6, 0x0
	.amdhsa_kernel _Z24kernel_memory_allocationv
		.amdhsa_group_segment_fixed_size 8
		.amdhsa_private_segment_fixed_size 104
		.amdhsa_kernarg_size 256
		.amdhsa_user_sgpr_count 6
		.amdhsa_user_sgpr_private_segment_buffer 1
		.amdhsa_user_sgpr_dispatch_ptr 0
		.amdhsa_user_sgpr_queue_ptr 0
		.amdhsa_user_sgpr_kernarg_segment_ptr 1
		.amdhsa_user_sgpr_dispatch_id 0
		.amdhsa_user_sgpr_flat_scratch_init 0
		.amdhsa_user_sgpr_private_segment_size 0
		.amdhsa_uses_dynamic_stack 0
		.amdhsa_system_sgpr_private_segment_wavefront_offset 1
		.amdhsa_system_sgpr_workgroup_id_x 1
		.amdhsa_system_sgpr_workgroup_id_y 0
		.amdhsa_system_sgpr_workgroup_id_z 0
		.amdhsa_system_sgpr_workgroup_info 0
		.amdhsa_system_vgpr_workitem_id 0
		.amdhsa_next_free_vgpr 64
		.amdhsa_next_free_sgpr 98
		.amdhsa_reserve_vcc 1
		.amdhsa_reserve_flat_scratch 0
		.amdhsa_float_round_mode_32 0
		.amdhsa_float_round_mode_16_64 0
		.amdhsa_float_denorm_mode_32 3
		.amdhsa_float_denorm_mode_16_64 3
		.amdhsa_dx10_clamp 1
		.amdhsa_ieee_mode 1
		.amdhsa_fp16_overflow 0
		.amdhsa_exception_fp_ieee_invalid_op 0
		.amdhsa_exception_fp_denorm_src 0
		.amdhsa_exception_fp_ieee_div_zero 0
		.amdhsa_exception_fp_ieee_overflow 0
		.amdhsa_exception_fp_ieee_underflow 0
		.amdhsa_exception_fp_ieee_inexact 0
		.amdhsa_exception_int_div_zero 0
	.end_amdhsa_kernel
	.text
.Lfunc_end2:
	.size	_Z24kernel_memory_allocationv, .Lfunc_end2-_Z24kernel_memory_allocationv
                                        ; -- End function
	.set _Z24kernel_memory_allocationv.num_vgpr, max(42, .L__ockl_dm_alloc.num_vgpr, .L__ockl_dm_dealloc.num_vgpr)
	.set _Z24kernel_memory_allocationv.num_agpr, max(0, .L__ockl_dm_alloc.num_agpr, .L__ockl_dm_dealloc.num_agpr)
	.set _Z24kernel_memory_allocationv.numbered_sgpr, max(98, .L__ockl_dm_alloc.numbered_sgpr, .L__ockl_dm_dealloc.numbered_sgpr)
	.set _Z24kernel_memory_allocationv.num_named_barrier, max(0, .L__ockl_dm_alloc.num_named_barrier, .L__ockl_dm_dealloc.num_named_barrier)
	.set _Z24kernel_memory_allocationv.private_seg_size, 0+max(.L__ockl_dm_alloc.private_seg_size, .L__ockl_dm_dealloc.private_seg_size)
	.set _Z24kernel_memory_allocationv.uses_vcc, or(1, .L__ockl_dm_alloc.uses_vcc, .L__ockl_dm_dealloc.uses_vcc)
	.set _Z24kernel_memory_allocationv.uses_flat_scratch, or(0, .L__ockl_dm_alloc.uses_flat_scratch, .L__ockl_dm_dealloc.uses_flat_scratch)
	.set _Z24kernel_memory_allocationv.has_dyn_sized_stack, or(0, .L__ockl_dm_alloc.has_dyn_sized_stack, .L__ockl_dm_dealloc.has_dyn_sized_stack)
	.set _Z24kernel_memory_allocationv.has_recursion, or(0, .L__ockl_dm_alloc.has_recursion, .L__ockl_dm_dealloc.has_recursion)
	.set _Z24kernel_memory_allocationv.has_indirect_call, or(0, .L__ockl_dm_alloc.has_indirect_call, .L__ockl_dm_dealloc.has_indirect_call)
	.section	.AMDGPU.csdata,"",@progbits
; Kernel info:
; codeLenInByte = 892
; TotalNumSgprs: 102
; NumVgprs: 64
; ScratchSize: 104
; MemoryBound: 0
; FloatMode: 240
; IeeeMode: 1
; LDSByteSize: 8 bytes/workgroup (compile time only)
; SGPRBlocks: 12
; VGPRBlocks: 15
; NumSGPRsForWavesPerEU: 102
; NumVGPRsForWavesPerEU: 64
; Occupancy: 4
; WaveLimiterHint : 1
; COMPUTE_PGM_RSRC2:SCRATCH_EN: 1
; COMPUTE_PGM_RSRC2:USER_SGPR: 6
; COMPUTE_PGM_RSRC2:TRAP_HANDLER: 0
; COMPUTE_PGM_RSRC2:TGID_X_EN: 1
; COMPUTE_PGM_RSRC2:TGID_Y_EN: 0
; COMPUTE_PGM_RSRC2:TGID_Z_EN: 0
; COMPUTE_PGM_RSRC2:TIDIG_COMP_CNT: 0
	.section	.AMDGPU.gpr_maximums,"",@progbits
	.set amdgpu.max_num_vgpr, 64
	.set amdgpu.max_num_agpr, 0
	.set amdgpu.max_num_sgpr, 96
	.section	.AMDGPU.csdata,"",@progbits
	.type	__hip_cuid_304751fb2d5b2a32,@object ; @__hip_cuid_304751fb2d5b2a32
	.section	.bss,"aw",@nobits
	.globl	__hip_cuid_304751fb2d5b2a32
__hip_cuid_304751fb2d5b2a32:
	.byte	0                               ; 0x0
	.size	__hip_cuid_304751fb2d5b2a32, 1

	.type	kinfo,@object                   ; @kinfo
	.section	.rodata,"a",@progbits
	.p2align	2, 0x0
kinfo:
	.long	130054                          ; 0x1fc06
	.long	129546                          ; 0x1fa0a
	;; [unrolled: 1-line block ×3, first 2 shown]
	.long	16288                           ; 0x3fa0
	.long	6                               ; 0x6
	.long	256                             ; 0x100
	.long	0                               ; 0x0
	.long	86927                           ; 0x1538f
	.long	86758                           ; 0x152e6
	;; [unrolled: 1-line block ×4, first 2 shown]
	.long	399                             ; 0x18f
	.long	512                             ; 0x200
	.long	0                               ; 0x0
	.long	65280                           ; 0xff00
	.long	64770                           ; 0xfd02
	.long	55054                           ; 0xd70e
	.long	8192                            ; 0x2000
	.long	0                               ; 0x0
	.long	128                             ; 0x80
	.long	0                               ; 0x0
	.long	43576                           ; 0xaa38
	.long	43406                           ; 0xa98e
	;; [unrolled: 1-line block ×3, first 2 shown]
	.long	5504                            ; 0x1580
	.long	56                              ; 0x38
	.long	256                             ; 0x100
	.long	0                               ; 0x0
	.long	32703                           ; 0x7fbf
	.long	32193                           ; 0x7dc1
	;; [unrolled: 1-line block ×3, first 2 shown]
	.long	4160                            ; 0x1040
	.long	63                              ; 0x3f
	.long	64                              ; 0x40
	.long	0                               ; 0x0
	.long	21816                           ; 0x5538
	.long	21646                           ; 0x548e
	;; [unrolled: 1-line block ×3, first 2 shown]
	.long	2816                            ; 0xb00
	.long	56                              ; 0x38
	.long	128                             ; 0x80
	.long	0                               ; 0x0
	.long	16367                           ; 0x3fef
	.long	15856                           ; 0x3df0
	;; [unrolled: 1-line block ×3, first 2 shown]
	.long	2176                            ; 0x880
	.long	15                              ; 0xf
	.long	32                              ; 0x20
	.long	32768                           ; 0x8000
	.long	10915                           ; 0x2aa3
	;; [unrolled: 1-line block ×3, first 2 shown]
	.long	9133                            ; 0x23ad
	.long	1472                            ; 0x5c0
	.long	35                              ; 0x23
	.long	64                              ; 0x40
	.long	0                               ; 0x0
	.long	8187                            ; 0x1ffb
	.long	7676                            ; 0x1dfc
	;; [unrolled: 1-line block ×4, first 2 shown]
	.long	11                              ; 0xb
	.long	16                              ; 0x10
	.long	134219776                       ; 0x8000800
	.long	5459                            ; 0x1553
	.long	5289                            ; 0x14a9
	;; [unrolled: 1-line block ×3, first 2 shown]
	.long	896                             ; 0x380
	.long	19                              ; 0x13
	.long	32                              ; 0x20
	.long	524288                          ; 0x80000
	.long	4094                            ; 0xffe
	.long	3583                            ; 0xdff
	;; [unrolled: 1-line block ×4, first 2 shown]
	.long	6                               ; 0x6
	.long	8                               ; 0x8
	.long	1077952576                      ; 0x40404040
	.long	2730                            ; 0xaaa
	.long	2560                            ; 0xa00
	;; [unrolled: 1-line block ×3, first 2 shown]
	.long	512                             ; 0x200
	.long	10                              ; 0xa
	.long	16                              ; 0x10
	.long	67109888                        ; 0x4000400
	.long	2047                            ; 0x7ff
	.long	1536                            ; 0x600
	.long	1305                            ; 0x519
	.long	1024                            ; 0x400
	.long	3                               ; 0x3
	.long	4                               ; 0x4
	.long	2290649224                      ; 0x88888888
	.long	1365                            ; 0x555
	.long	1195                            ; 0x4ab
	.long	1015                            ; 0x3f7
	.long	512                             ; 0x200
	.long	5                               ; 0x5
	.long	8                               ; 0x8
	.long	538976288                       ; 0x20202020
	.long	1023                            ; 0x3ff
	.long	512                             ; 0x200
	.long	435                             ; 0x1b3
	.long	2048                            ; 0x800
	.long	1                               ; 0x1
	.long	2                               ; 0x2
	.long	2863311530                      ; 0xaaaaaaaa
	.long	682                             ; 0x2aa
	.long	512                             ; 0x200
	;; [unrolled: 1-line block ×3, first 2 shown]
	.long	2048                            ; 0x800
	.long	2                               ; 0x2
	.long	4                               ; 0x4
	.long	1145324612                      ; 0x44444444
	.size	kinfo, 448

	.ident	"AMD clang version 22.0.0git (https://github.com/RadeonOpenCompute/llvm-project roc-7.2.4 26084 f58b06dce1f9c15707c5f808fd002e18c2accf7e)"
	.section	".note.GNU-stack","",@progbits
	.addrsig
	.addrsig_sym __hip_cuid_304751fb2d5b2a32
	.amdgpu_metadata
---
amdhsa.kernels:
  - .args:
      - .offset:         0
        .size:           4
        .value_kind:     hidden_block_count_x
      - .offset:         4
        .size:           4
        .value_kind:     hidden_block_count_y
      - .offset:         8
        .size:           4
        .value_kind:     hidden_block_count_z
      - .offset:         12
        .size:           2
        .value_kind:     hidden_group_size_x
      - .offset:         14
        .size:           2
        .value_kind:     hidden_group_size_y
      - .offset:         16
        .size:           2
        .value_kind:     hidden_group_size_z
      - .offset:         18
        .size:           2
        .value_kind:     hidden_remainder_x
      - .offset:         20
        .size:           2
        .value_kind:     hidden_remainder_y
      - .offset:         22
        .size:           2
        .value_kind:     hidden_remainder_z
      - .offset:         40
        .size:           8
        .value_kind:     hidden_global_offset_x
      - .offset:         48
        .size:           8
        .value_kind:     hidden_global_offset_y
      - .offset:         56
        .size:           8
        .value_kind:     hidden_global_offset_z
      - .offset:         64
        .size:           2
        .value_kind:     hidden_grid_dims
      - .offset:         80
        .size:           8
        .value_kind:     hidden_hostcall_buffer
      - .offset:         96
        .size:           8
        .value_kind:     hidden_heap_v1
    .group_segment_fixed_size: 8
    .kernarg_segment_align: 8
    .kernarg_segment_size: 256
    .language:       OpenCL C
    .language_version:
      - 2
      - 0
    .max_flat_workgroup_size: 1024
    .name:           _Z24kernel_memory_allocationv
    .private_segment_fixed_size: 104
    .sgpr_count:     102
    .sgpr_spill_count: 0
    .symbol:         _Z24kernel_memory_allocationv.kd
    .uniform_work_group_size: 1
    .uses_dynamic_stack: false
    .vgpr_count:     64
    .vgpr_spill_count: 0
    .wavefront_size: 64
amdhsa.target:   amdgcn-amd-amdhsa--gfx906
amdhsa.version:
  - 1
  - 2
...

	.end_amdgpu_metadata
